;; amdgpu-corpus repo=ROCm/rocFFT kind=compiled arch=gfx906 opt=O3
	.text
	.amdgcn_target "amdgcn-amd-amdhsa--gfx906"
	.amdhsa_code_object_version 6
	.protected	fft_rtc_fwd_len714_factors_3_17_7_2_wgs_51_tpt_51_halfLds_sp_op_CI_CI_unitstride_sbrr_C2R_dirReg ; -- Begin function fft_rtc_fwd_len714_factors_3_17_7_2_wgs_51_tpt_51_halfLds_sp_op_CI_CI_unitstride_sbrr_C2R_dirReg
	.globl	fft_rtc_fwd_len714_factors_3_17_7_2_wgs_51_tpt_51_halfLds_sp_op_CI_CI_unitstride_sbrr_C2R_dirReg
	.p2align	8
	.type	fft_rtc_fwd_len714_factors_3_17_7_2_wgs_51_tpt_51_halfLds_sp_op_CI_CI_unitstride_sbrr_C2R_dirReg,@function
fft_rtc_fwd_len714_factors_3_17_7_2_wgs_51_tpt_51_halfLds_sp_op_CI_CI_unitstride_sbrr_C2R_dirReg: ; @fft_rtc_fwd_len714_factors_3_17_7_2_wgs_51_tpt_51_halfLds_sp_op_CI_CI_unitstride_sbrr_C2R_dirReg
; %bb.0:
	s_load_dwordx4 s[8:11], s[4:5], 0x58
	s_load_dwordx4 s[12:15], s[4:5], 0x0
	;; [unrolled: 1-line block ×3, first 2 shown]
	v_mul_u32_u24_e32 v1, 0x506, v0
	v_add_u32_sdwa v5, s6, v1 dst_sel:DWORD dst_unused:UNUSED_PAD src0_sel:DWORD src1_sel:WORD_1
	v_mov_b32_e32 v3, 0
	s_waitcnt lgkmcnt(0)
	v_cmp_lt_u64_e64 s[0:1], s[14:15], 2
	v_mov_b32_e32 v1, 0
	v_mov_b32_e32 v6, v3
	s_and_b64 vcc, exec, s[0:1]
	v_mov_b32_e32 v2, 0
	s_cbranch_vccnz .LBB0_8
; %bb.1:
	s_load_dwordx2 s[0:1], s[4:5], 0x10
	s_add_u32 s2, s18, 8
	s_addc_u32 s3, s19, 0
	s_add_u32 s6, s16, 8
	v_mov_b32_e32 v1, 0
	s_addc_u32 s7, s17, 0
	v_mov_b32_e32 v2, 0
	s_waitcnt lgkmcnt(0)
	s_add_u32 s20, s0, 8
	v_mov_b32_e32 v33, v2
	s_addc_u32 s21, s1, 0
	s_mov_b64 s[22:23], 1
	v_mov_b32_e32 v32, v1
.LBB0_2:                                ; =>This Inner Loop Header: Depth=1
	s_load_dwordx2 s[24:25], s[20:21], 0x0
                                        ; implicit-def: $vgpr36_vgpr37
	s_waitcnt lgkmcnt(0)
	v_or_b32_e32 v4, s25, v6
	v_cmp_ne_u64_e32 vcc, 0, v[3:4]
	s_and_saveexec_b64 s[0:1], vcc
	s_xor_b64 s[26:27], exec, s[0:1]
	s_cbranch_execz .LBB0_4
; %bb.3:                                ;   in Loop: Header=BB0_2 Depth=1
	v_cvt_f32_u32_e32 v4, s24
	v_cvt_f32_u32_e32 v7, s25
	s_sub_u32 s0, 0, s24
	s_subb_u32 s1, 0, s25
	v_mac_f32_e32 v4, 0x4f800000, v7
	v_rcp_f32_e32 v4, v4
	v_mul_f32_e32 v4, 0x5f7ffffc, v4
	v_mul_f32_e32 v7, 0x2f800000, v4
	v_trunc_f32_e32 v7, v7
	v_mac_f32_e32 v4, 0xcf800000, v7
	v_cvt_u32_f32_e32 v7, v7
	v_cvt_u32_f32_e32 v4, v4
	v_mul_lo_u32 v8, s0, v7
	v_mul_hi_u32 v9, s0, v4
	v_mul_lo_u32 v11, s1, v4
	v_mul_lo_u32 v10, s0, v4
	v_add_u32_e32 v8, v9, v8
	v_add_u32_e32 v8, v8, v11
	v_mul_hi_u32 v9, v4, v10
	v_mul_lo_u32 v11, v4, v8
	v_mul_hi_u32 v13, v4, v8
	v_mul_hi_u32 v12, v7, v10
	v_mul_lo_u32 v10, v7, v10
	v_mul_hi_u32 v14, v7, v8
	v_add_co_u32_e32 v9, vcc, v9, v11
	v_addc_co_u32_e32 v11, vcc, 0, v13, vcc
	v_mul_lo_u32 v8, v7, v8
	v_add_co_u32_e32 v9, vcc, v9, v10
	v_addc_co_u32_e32 v9, vcc, v11, v12, vcc
	v_addc_co_u32_e32 v10, vcc, 0, v14, vcc
	v_add_co_u32_e32 v8, vcc, v9, v8
	v_addc_co_u32_e32 v9, vcc, 0, v10, vcc
	v_add_co_u32_e32 v4, vcc, v4, v8
	v_addc_co_u32_e32 v7, vcc, v7, v9, vcc
	v_mul_lo_u32 v8, s0, v7
	v_mul_hi_u32 v9, s0, v4
	v_mul_lo_u32 v10, s1, v4
	v_mul_lo_u32 v11, s0, v4
	v_add_u32_e32 v8, v9, v8
	v_add_u32_e32 v8, v8, v10
	v_mul_lo_u32 v12, v4, v8
	v_mul_hi_u32 v13, v4, v11
	v_mul_hi_u32 v14, v4, v8
	v_mul_hi_u32 v10, v7, v11
	v_mul_lo_u32 v11, v7, v11
	v_mul_hi_u32 v9, v7, v8
	v_add_co_u32_e32 v12, vcc, v13, v12
	v_addc_co_u32_e32 v13, vcc, 0, v14, vcc
	v_mul_lo_u32 v8, v7, v8
	v_add_co_u32_e32 v11, vcc, v12, v11
	v_addc_co_u32_e32 v10, vcc, v13, v10, vcc
	v_addc_co_u32_e32 v9, vcc, 0, v9, vcc
	v_add_co_u32_e32 v8, vcc, v10, v8
	v_addc_co_u32_e32 v9, vcc, 0, v9, vcc
	v_add_co_u32_e32 v4, vcc, v4, v8
	v_addc_co_u32_e32 v9, vcc, v7, v9, vcc
	v_mad_u64_u32 v[7:8], s[0:1], v5, v9, 0
	v_mul_hi_u32 v10, v5, v4
	v_add_co_u32_e32 v11, vcc, v10, v7
	v_addc_co_u32_e32 v12, vcc, 0, v8, vcc
	v_mad_u64_u32 v[7:8], s[0:1], v6, v4, 0
	v_mad_u64_u32 v[9:10], s[0:1], v6, v9, 0
	v_add_co_u32_e32 v4, vcc, v11, v7
	v_addc_co_u32_e32 v4, vcc, v12, v8, vcc
	v_addc_co_u32_e32 v7, vcc, 0, v10, vcc
	v_add_co_u32_e32 v4, vcc, v4, v9
	v_addc_co_u32_e32 v9, vcc, 0, v7, vcc
	v_mul_lo_u32 v10, s25, v4
	v_mul_lo_u32 v11, s24, v9
	v_mad_u64_u32 v[7:8], s[0:1], s24, v4, 0
	v_add3_u32 v8, v8, v11, v10
	v_sub_u32_e32 v10, v6, v8
	v_mov_b32_e32 v11, s25
	v_sub_co_u32_e32 v7, vcc, v5, v7
	v_subb_co_u32_e64 v10, s[0:1], v10, v11, vcc
	v_subrev_co_u32_e64 v11, s[0:1], s24, v7
	v_subbrev_co_u32_e64 v10, s[0:1], 0, v10, s[0:1]
	v_cmp_le_u32_e64 s[0:1], s25, v10
	v_cndmask_b32_e64 v12, 0, -1, s[0:1]
	v_cmp_le_u32_e64 s[0:1], s24, v11
	v_cndmask_b32_e64 v11, 0, -1, s[0:1]
	v_cmp_eq_u32_e64 s[0:1], s25, v10
	v_cndmask_b32_e64 v10, v12, v11, s[0:1]
	v_add_co_u32_e64 v11, s[0:1], 2, v4
	v_addc_co_u32_e64 v12, s[0:1], 0, v9, s[0:1]
	v_add_co_u32_e64 v13, s[0:1], 1, v4
	v_addc_co_u32_e64 v14, s[0:1], 0, v9, s[0:1]
	v_subb_co_u32_e32 v8, vcc, v6, v8, vcc
	v_cmp_ne_u32_e64 s[0:1], 0, v10
	v_cmp_le_u32_e32 vcc, s25, v8
	v_cndmask_b32_e64 v10, v14, v12, s[0:1]
	v_cndmask_b32_e64 v12, 0, -1, vcc
	v_cmp_le_u32_e32 vcc, s24, v7
	v_cndmask_b32_e64 v7, 0, -1, vcc
	v_cmp_eq_u32_e32 vcc, s25, v8
	v_cndmask_b32_e32 v7, v12, v7, vcc
	v_cmp_ne_u32_e32 vcc, 0, v7
	v_cndmask_b32_e64 v7, v13, v11, s[0:1]
	v_cndmask_b32_e32 v37, v9, v10, vcc
	v_cndmask_b32_e32 v36, v4, v7, vcc
.LBB0_4:                                ;   in Loop: Header=BB0_2 Depth=1
	s_andn2_saveexec_b64 s[0:1], s[26:27]
	s_cbranch_execz .LBB0_6
; %bb.5:                                ;   in Loop: Header=BB0_2 Depth=1
	v_cvt_f32_u32_e32 v4, s24
	s_sub_i32 s26, 0, s24
	v_mov_b32_e32 v37, v3
	v_rcp_iflag_f32_e32 v4, v4
	v_mul_f32_e32 v4, 0x4f7ffffe, v4
	v_cvt_u32_f32_e32 v4, v4
	v_mul_lo_u32 v7, s26, v4
	v_mul_hi_u32 v7, v4, v7
	v_add_u32_e32 v4, v4, v7
	v_mul_hi_u32 v4, v5, v4
	v_mul_lo_u32 v7, v4, s24
	v_add_u32_e32 v8, 1, v4
	v_sub_u32_e32 v7, v5, v7
	v_subrev_u32_e32 v9, s24, v7
	v_cmp_le_u32_e32 vcc, s24, v7
	v_cndmask_b32_e32 v7, v7, v9, vcc
	v_cndmask_b32_e32 v4, v4, v8, vcc
	v_add_u32_e32 v8, 1, v4
	v_cmp_le_u32_e32 vcc, s24, v7
	v_cndmask_b32_e32 v36, v4, v8, vcc
.LBB0_6:                                ;   in Loop: Header=BB0_2 Depth=1
	s_or_b64 exec, exec, s[0:1]
	v_mul_lo_u32 v4, v37, s24
	v_mul_lo_u32 v9, v36, s25
	v_mad_u64_u32 v[7:8], s[0:1], v36, s24, 0
	s_load_dwordx2 s[0:1], s[6:7], 0x0
	s_load_dwordx2 s[24:25], s[2:3], 0x0
	v_add3_u32 v4, v8, v9, v4
	v_sub_co_u32_e32 v5, vcc, v5, v7
	v_subb_co_u32_e32 v4, vcc, v6, v4, vcc
	s_waitcnt lgkmcnt(0)
	v_mul_lo_u32 v6, s0, v4
	v_mul_lo_u32 v7, s1, v5
	v_mad_u64_u32 v[1:2], s[0:1], s0, v5, v[1:2]
	v_mul_lo_u32 v4, s24, v4
	v_mul_lo_u32 v8, s25, v5
	v_mad_u64_u32 v[32:33], s[0:1], s24, v5, v[32:33]
	s_add_u32 s22, s22, 1
	s_addc_u32 s23, s23, 0
	s_add_u32 s2, s2, 8
	v_add3_u32 v33, v8, v33, v4
	s_addc_u32 s3, s3, 0
	v_mov_b32_e32 v4, s14
	s_add_u32 s6, s6, 8
	v_mov_b32_e32 v5, s15
	s_addc_u32 s7, s7, 0
	v_cmp_ge_u64_e32 vcc, s[22:23], v[4:5]
	s_add_u32 s20, s20, 8
	v_add3_u32 v2, v7, v2, v6
	s_addc_u32 s21, s21, 0
	s_cbranch_vccnz .LBB0_9
; %bb.7:                                ;   in Loop: Header=BB0_2 Depth=1
	v_mov_b32_e32 v5, v36
	v_mov_b32_e32 v6, v37
	s_branch .LBB0_2
.LBB0_8:
	v_mov_b32_e32 v33, v2
	v_mov_b32_e32 v37, v6
	;; [unrolled: 1-line block ×4, first 2 shown]
.LBB0_9:
	s_load_dwordx2 s[4:5], s[4:5], 0x28
	s_lshl_b64 s[6:7], s[14:15], 3
	s_add_u32 s2, s18, s6
	s_addc_u32 s3, s19, s7
                                        ; implicit-def: $vgpr34
                                        ; implicit-def: $vgpr3_vgpr4
	s_waitcnt lgkmcnt(0)
	v_cmp_gt_u64_e64 s[0:1], s[4:5], v[36:37]
	v_cmp_le_u64_e32 vcc, s[4:5], v[36:37]
	s_and_saveexec_b64 s[4:5], vcc
	s_xor_b64 s[4:5], exec, s[4:5]
; %bb.10:
	s_mov_b32 s14, 0x5050506
	v_mul_hi_u32 v1, v0, s14
	v_mov_b32_e32 v35, 0
	v_mul_u32_u24_e32 v1, 51, v1
	v_sub_u32_e32 v34, v0, v1
	v_mov_b32_e32 v3, v34
	v_mov_b32_e32 v4, v35
                                        ; implicit-def: $vgpr0
                                        ; implicit-def: $vgpr1_vgpr2
; %bb.11:
	s_or_saveexec_b64 s[4:5], s[4:5]
	s_load_dwordx2 s[2:3], s[2:3], 0x0
	s_xor_b64 exec, exec, s[4:5]
	s_cbranch_execz .LBB0_15
; %bb.12:
	s_add_u32 s6, s16, s6
	s_addc_u32 s7, s17, s7
	s_load_dwordx2 s[6:7], s[6:7], 0x0
	s_mov_b32 s14, 0x5050506
	v_mul_hi_u32 v5, v0, s14
	v_lshlrev_b64 v[1:2], 3, v[1:2]
	v_mov_b32_e32 v35, 0
	s_waitcnt lgkmcnt(0)
	v_mul_lo_u32 v6, s7, v36
	v_mul_lo_u32 v7, s6, v37
	v_mad_u64_u32 v[3:4], s[6:7], s6, v36, 0
	v_mul_u32_u24_e32 v5, 51, v5
	v_sub_u32_e32 v34, v0, v5
	v_add3_u32 v4, v4, v7, v6
	v_lshlrev_b64 v[3:4], 3, v[3:4]
	v_mov_b32_e32 v0, s9
	v_add_co_u32_e32 v3, vcc, s8, v3
	v_addc_co_u32_e32 v0, vcc, v0, v4, vcc
	v_add_co_u32_e32 v1, vcc, v3, v1
	v_addc_co_u32_e32 v0, vcc, v0, v2, vcc
	v_lshlrev_b32_e32 v40, 3, v34
	v_add_co_u32_e32 v2, vcc, v1, v40
	v_addc_co_u32_e32 v3, vcc, 0, v0, vcc
	v_add_co_u32_e32 v14, vcc, 0x1000, v2
	global_load_dwordx2 v[4:5], v[2:3], off
	global_load_dwordx2 v[6:7], v[2:3], off offset:408
	global_load_dwordx2 v[8:9], v[2:3], off offset:816
	;; [unrolled: 1-line block ×4, first 2 shown]
	v_addc_co_u32_e32 v15, vcc, 0, v3, vcc
	global_load_dwordx2 v[16:17], v[2:3], off offset:3264
	global_load_dwordx2 v[18:19], v[2:3], off offset:3672
	;; [unrolled: 1-line block ×9, first 2 shown]
	v_add_u32_e32 v2, 0, v40
	v_add_u32_e32 v3, 0x800, v2
	;; [unrolled: 1-line block ×4, first 2 shown]
	v_cmp_eq_u32_e32 vcc, 50, v34
	s_waitcnt vmcnt(12)
	ds_write2_b64 v2, v[4:5], v[6:7] offset1:51
	s_waitcnt vmcnt(10)
	ds_write2_b64 v2, v[8:9], v[10:11] offset0:102 offset1:153
	s_waitcnt vmcnt(4)
	ds_write2_b64 v3, v[24:25], v[12:13] offset0:50 offset1:101
	ds_write2_b64 v3, v[16:17], v[18:19] offset0:152 offset1:203
	s_waitcnt vmcnt(2)
	ds_write2_b64 v2, v[26:27], v[28:29] offset0:204 offset1:255
	ds_write2_b64 v14, v[20:21], v[22:23] offset0:126 offset1:177
	s_waitcnt vmcnt(0)
	ds_write2_b64 v15, v[30:31], v[38:39] offset0:100 offset1:151
	v_mov_b32_e32 v3, v34
	v_mov_b32_e32 v4, v35
	s_and_saveexec_b64 s[6:7], vcc
	s_cbranch_execz .LBB0_14
; %bb.13:
	v_add_co_u32_e32 v1, vcc, 0x1000, v1
	v_addc_co_u32_e32 v2, vcc, 0, v0, vcc
	global_load_dwordx2 v[0:1], v[1:2], off offset:1616
	v_mov_b32_e32 v3, 50
	v_mov_b32_e32 v4, 0
	;; [unrolled: 1-line block ×3, first 2 shown]
	s_waitcnt vmcnt(0)
	ds_write_b64 v35, v[0:1] offset:5712
.LBB0_14:
	s_or_b64 exec, exec, s[6:7]
.LBB0_15:
	s_or_b64 exec, exec, s[4:5]
	v_lshlrev_b32_e32 v0, 3, v34
	v_add_u32_e32 v44, 0, v0
	s_waitcnt lgkmcnt(0)
	; wave barrier
	s_waitcnt lgkmcnt(0)
	v_sub_u32_e32 v2, 0, v0
	ds_read_b32 v5, v44
	ds_read_b32 v6, v2 offset:5712
	s_add_u32 s6, s12, 0x1638
	v_lshlrev_b64 v[38:39], 3, v[3:4]
	s_addc_u32 s7, s13, 0
	v_cmp_ne_u32_e32 vcc, 0, v34
	s_waitcnt lgkmcnt(0)
	v_add_f32_e32 v0, v6, v5
	v_sub_f32_e32 v1, v5, v6
	s_and_saveexec_b64 s[4:5], vcc
	s_xor_b64 s[4:5], exec, s[4:5]
	s_cbranch_execz .LBB0_17
; %bb.16:
	v_mov_b32_e32 v1, s7
	v_add_co_u32_e32 v0, vcc, s6, v38
	v_addc_co_u32_e32 v1, vcc, v1, v39, vcc
	global_load_dwordx2 v[3:4], v[0:1], off
	ds_read_b32 v0, v2 offset:5716
	ds_read_b32 v1, v44 offset:4
	v_add_f32_e32 v7, v6, v5
	v_sub_f32_e32 v8, v5, v6
	s_waitcnt lgkmcnt(0)
	v_add_f32_e32 v9, v0, v1
	v_sub_f32_e32 v0, v1, v0
	s_waitcnt vmcnt(0)
	v_fma_f32 v5, -v8, v4, v7
	v_fma_f32 v6, v9, v4, -v0
	v_fma_f32 v10, v8, v4, v7
	v_fma_f32 v1, v9, v4, v0
	v_fmac_f32_e32 v5, v3, v9
	v_fmac_f32_e32 v6, v8, v3
	v_fma_f32 v0, -v3, v9, v10
	v_fmac_f32_e32 v1, v8, v3
	ds_write_b64 v2, v[5:6] offset:5712
.LBB0_17:
	s_andn2_saveexec_b64 s[4:5], s[4:5]
	s_cbranch_execz .LBB0_19
; %bb.18:
	v_mov_b32_e32 v5, 0
	ds_read_b64 v[3:4], v5 offset:2856
	s_waitcnt lgkmcnt(0)
	v_add_f32_e32 v3, v3, v3
	v_mul_f32_e32 v4, -2.0, v4
	ds_write_b64 v5, v[3:4] offset:2856
.LBB0_19:
	s_or_b64 exec, exec, s[4:5]
	v_mov_b32_e32 v35, 0
	v_lshlrev_b64 v[40:41], 3, v[34:35]
	v_mov_b32_e32 v4, s7
	v_add_co_u32_e32 v3, vcc, s6, v40
	v_addc_co_u32_e32 v4, vcc, v4, v41, vcc
	global_load_dwordx2 v[5:6], v[3:4], off offset:408
	global_load_dwordx2 v[7:8], v[3:4], off offset:816
	;; [unrolled: 1-line block ×4, first 2 shown]
	ds_write_b64 v44, v[0:1]
	ds_read_b64 v[0:1], v44 offset:408
	ds_read_b64 v[13:14], v2 offset:5304
	global_load_dwordx2 v[15:16], v[3:4], off offset:2040
	v_add_u32_e32 v21, 0x1000, v44
	v_cmp_gt_u32_e32 vcc, 34, v34
	s_waitcnt lgkmcnt(0)
	v_add_f32_e32 v17, v0, v13
	v_add_f32_e32 v18, v14, v1
	v_sub_f32_e32 v19, v0, v13
	v_sub_f32_e32 v13, v1, v14
	s_waitcnt vmcnt(4)
	v_fma_f32 v20, v19, v6, v17
	v_fma_f32 v14, v18, v6, v13
	v_fma_f32 v0, -v19, v6, v17
	v_fma_f32 v1, v18, v6, -v13
	v_fma_f32 v13, -v5, v18, v20
	v_fmac_f32_e32 v14, v19, v5
	v_fmac_f32_e32 v0, v5, v18
	;; [unrolled: 1-line block ×3, first 2 shown]
	ds_write_b64 v44, v[13:14] offset:408
	ds_write_b64 v2, v[0:1] offset:5304
	ds_read_b64 v[0:1], v44 offset:816
	ds_read_b64 v[5:6], v2 offset:4896
	global_load_dwordx2 v[3:4], v[3:4], off offset:2448
	v_add_u32_e32 v20, 0x800, v44
	s_waitcnt lgkmcnt(0)
	v_add_f32_e32 v13, v0, v5
	v_add_f32_e32 v14, v6, v1
	v_sub_f32_e32 v17, v0, v5
	v_sub_f32_e32 v5, v1, v6
	s_waitcnt vmcnt(4)
	v_fma_f32 v18, v17, v8, v13
	v_fma_f32 v6, v14, v8, v5
	v_fma_f32 v0, -v17, v8, v13
	v_fma_f32 v1, v14, v8, -v5
	v_fma_f32 v5, -v7, v14, v18
	v_fmac_f32_e32 v6, v17, v7
	v_fmac_f32_e32 v0, v7, v14
	v_fmac_f32_e32 v1, v17, v7
	ds_write_b64 v44, v[5:6] offset:816
	ds_write_b64 v2, v[0:1] offset:4896
	ds_read_b64 v[0:1], v44 offset:1224
	ds_read_b64 v[5:6], v2 offset:4488
	s_waitcnt lgkmcnt(0)
	v_add_f32_e32 v7, v0, v5
	v_add_f32_e32 v8, v6, v1
	v_sub_f32_e32 v13, v0, v5
	v_sub_f32_e32 v0, v1, v6
	s_waitcnt vmcnt(3)
	v_fma_f32 v14, v13, v10, v7
	v_fma_f32 v1, v8, v10, v0
	v_fma_f32 v5, -v13, v10, v7
	v_fma_f32 v6, v8, v10, -v0
	v_fma_f32 v0, -v9, v8, v14
	v_fmac_f32_e32 v1, v13, v9
	v_fmac_f32_e32 v5, v9, v8
	v_fmac_f32_e32 v6, v13, v9
	ds_write_b64 v44, v[0:1] offset:1224
	ds_write_b64 v2, v[5:6] offset:4488
	ds_read_b64 v[0:1], v44 offset:1632
	ds_read_b64 v[5:6], v2 offset:4080
	;; [unrolled: 18-line block ×4, first 2 shown]
	v_add_u32_e32 v8, 0xc00, v44
	s_waitcnt lgkmcnt(0)
	v_add_f32_e32 v7, v0, v5
	v_add_f32_e32 v9, v6, v1
	v_sub_f32_e32 v10, v0, v5
	v_sub_f32_e32 v0, v1, v6
	s_waitcnt vmcnt(0)
	v_fma_f32 v11, v10, v4, v7
	v_fma_f32 v1, v9, v4, v0
	v_fma_f32 v5, -v10, v4, v7
	v_fma_f32 v6, v9, v4, -v0
	v_fma_f32 v0, -v3, v9, v11
	v_fmac_f32_e32 v1, v10, v3
	v_fmac_f32_e32 v5, v3, v9
	;; [unrolled: 1-line block ×3, first 2 shown]
	ds_write_b64 v44, v[0:1] offset:2448
	ds_write_b64 v2, v[5:6] offset:3264
	s_waitcnt lgkmcnt(0)
	; wave barrier
	s_waitcnt lgkmcnt(0)
	s_waitcnt lgkmcnt(0)
	; wave barrier
	s_waitcnt lgkmcnt(0)
	ds_read2_b64 v[4:7], v44 offset1:51
	ds_read2_b64 v[16:19], v44 offset0:204 offset1:238
	ds_read2_b64 v[0:3], v8 offset0:92 offset1:143
	;; [unrolled: 1-line block ×5, first 2 shown]
	s_waitcnt lgkmcnt(4)
	v_add_f32_e32 v21, v4, v18
	v_add_f32_e32 v22, v5, v19
	s_waitcnt lgkmcnt(3)
	v_add_f32_e32 v25, v18, v0
	v_sub_f32_e32 v30, v19, v1
	v_add_f32_e32 v31, v19, v1
	v_sub_f32_e32 v35, v18, v0
	v_add_f32_e32 v0, v21, v0
	ds_read2_b64 v[18:21], v20 offset0:135 offset1:186
	s_waitcnt lgkmcnt(3)
	v_add_f32_e32 v23, v6, v12
	v_add_f32_e32 v24, v7, v13
	;; [unrolled: 1-line block ×6, first 2 shown]
	v_sub_f32_e32 v24, v12, v2
	s_waitcnt lgkmcnt(2)
	v_add_f32_e32 v2, v8, v14
	s_waitcnt lgkmcnt(1)
	v_add_f32_e32 v12, v2, v26
	;; [unrolled: 2-line block ×3, first 2 shown]
	v_sub_f32_e32 v43, v13, v3
	v_add_f32_e32 v45, v13, v3
	v_add_f32_e32 v46, v14, v26
	;; [unrolled: 1-line block ×3, first 2 shown]
	v_sub_f32_e32 v48, v14, v26
	v_add_f32_e32 v26, v2, v28
	v_add_f32_e32 v2, v11, v19
	v_sub_f32_e32 v47, v15, v27
	v_add_f32_e32 v15, v15, v27
	v_add_f32_e32 v13, v3, v27
	;; [unrolled: 1-line block ×3, first 2 shown]
	ds_read_b64 v[2:3], v44 offset:5440
	v_sub_f32_e32 v50, v19, v29
	v_add_f32_e32 v19, v19, v29
	v_fmac_f32_e32 v7, -0.5, v45
	v_fmac_f32_e32 v11, -0.5, v19
	v_add_f32_e32 v49, v18, v28
	v_sub_f32_e32 v18, v18, v28
	v_add_f32_e32 v14, v16, v20
	s_waitcnt lgkmcnt(0)
	v_add_f32_e32 v51, v20, v2
	v_sub_f32_e32 v52, v21, v3
	v_add_f32_e32 v29, v17, v21
	v_add_f32_e32 v53, v21, v3
	v_sub_f32_e32 v54, v20, v2
	v_fma_f32 v20, -0.5, v25, v4
	v_fma_f32 v21, -0.5, v31, v5
	v_mov_b32_e32 v5, v7
	v_fma_f32 v25, -0.5, v15, v9
	v_mov_b32_e32 v9, v11
	v_fmac_f32_e32 v5, 0xbf5db3d7, v24
	v_fmac_f32_e32 v7, 0x3f5db3d7, v24
	v_fma_f32 v24, -0.5, v46, v8
	v_fmac_f32_e32 v9, 0xbf5db3d7, v18
	v_fmac_f32_e32 v11, 0x3f5db3d7, v18
	v_lshlrev_b32_e32 v18, 4, v34
	v_add_f32_e32 v28, v14, v2
	v_mov_b32_e32 v14, v24
	v_mov_b32_e32 v15, v25
	v_fma_f32 v10, -0.5, v49, v10
	v_add_u32_e32 v18, v44, v18
	v_mov_b32_e32 v2, v20
	v_fma_f32 v6, -0.5, v42, v6
	v_fmac_f32_e32 v14, 0x3f5db3d7, v47
	v_fmac_f32_e32 v15, 0xbf5db3d7, v48
	v_mov_b32_e32 v8, v10
	v_fma_f32 v16, -0.5, v51, v16
	v_fmac_f32_e32 v17, -0.5, v53
	v_add_u32_e32 v19, 0x990, v18
	v_add_f32_e32 v29, v29, v3
	v_fmac_f32_e32 v2, 0x3f5db3d7, v30
	v_fmac_f32_e32 v20, 0xbf5db3d7, v30
	v_mov_b32_e32 v3, v21
	v_mov_b32_e32 v4, v6
	v_fmac_f32_e32 v8, 0x3f5db3d7, v50
	v_mov_b32_e32 v30, v16
	v_mov_b32_e32 v31, v17
	s_waitcnt lgkmcnt(0)
	; wave barrier
	ds_write2_b64 v19, v[12:13], v[14:15] offset1:1
	v_add_u32_e32 v19, 0xe58, v18
	v_fmac_f32_e32 v3, 0xbf5db3d7, v35
	v_fmac_f32_e32 v21, 0x3f5db3d7, v35
	v_fmac_f32_e32 v4, 0x3f5db3d7, v43
	v_fmac_f32_e32 v6, 0xbf5db3d7, v43
	v_fmac_f32_e32 v24, 0xbf5db3d7, v47
	v_fmac_f32_e32 v25, 0x3f5db3d7, v48
	v_fmac_f32_e32 v10, 0xbf5db3d7, v50
	v_fmac_f32_e32 v30, 0x3f5db3d7, v52
	v_fmac_f32_e32 v16, 0xbf5db3d7, v52
	v_fmac_f32_e32 v31, 0xbf5db3d7, v54
	v_fmac_f32_e32 v17, 0x3f5db3d7, v54
	ds_write2_b64 v19, v[26:27], v[8:9] offset1:1
	v_add_u32_e32 v19, 0x800, v18
	ds_write2_b64 v19, v[24:25], v[10:11] offset0:52 offset1:205
	ds_write2_b64 v18, v[0:1], v[2:3] offset1:1
	ds_write2_b64 v18, v[22:23], v[4:5] offset0:153 offset1:154
	ds_write2_b64 v18, v[20:21], v[6:7] offset0:2 offset1:155
	s_and_saveexec_b64 s[4:5], vcc
	s_cbranch_execz .LBB0_21
; %bb.20:
	v_add_u32_e32 v19, 0x1320, v18
	ds_write2_b64 v19, v[28:29], v[30:31] offset1:1
	ds_write_b64 v18, v[16:17] offset:4912
.LBB0_21:
	s_or_b64 exec, exec, s[4:5]
	v_cmp_gt_u32_e32 vcc, 42, v34
	s_waitcnt lgkmcnt(0)
	; wave barrier
	s_waitcnt lgkmcnt(0)
                                        ; implicit-def: $vgpr43
	s_and_saveexec_b64 s[4:5], vcc
	s_cbranch_execz .LBB0_23
; %bb.22:
	v_add_u32_e32 v8, 0x400, v44
	ds_read2_b64 v[0:3], v44 offset1:42
	ds_read2_b64 v[20:23], v44 offset0:84 offset1:126
	ds_read2_b64 v[4:7], v44 offset0:168 offset1:210
	;; [unrolled: 1-line block ×3, first 2 shown]
	v_add_u32_e32 v8, 0x800, v44
	v_add_u32_e32 v16, 0xc00, v44
	ds_read2_b64 v[24:27], v8 offset0:80 offset1:122
	ds_read2_b64 v[8:11], v8 offset0:164 offset1:206
	;; [unrolled: 1-line block ×3, first 2 shown]
	v_add_u32_e32 v16, 0x1000, v44
	ds_read2_b64 v[16:19], v16 offset0:76 offset1:118
	ds_read_b64 v[42:43], v44 offset:5376
.LBB0_23:
	s_or_b64 exec, exec, s[4:5]
	s_waitcnt lgkmcnt(0)
	; wave barrier
	s_waitcnt lgkmcnt(0)
	s_and_saveexec_b64 s[4:5], vcc
	s_cbranch_execz .LBB0_25
; %bb.24:
	s_movk_i32 s6, 0xab
	v_mul_lo_u16_sdwa v35, v34, s6 dst_sel:DWORD dst_unused:UNUSED_PAD src0_sel:BYTE_0 src1_sel:DWORD
	v_lshrrev_b16_e32 v35, 9, v35
	v_mul_lo_u16_e32 v45, 3, v35
	v_sub_u16_e32 v45, v34, v45
	v_mov_b32_e32 v46, 7
	v_lshlrev_b32_sdwa v46, v46, v45 dst_sel:DWORD dst_unused:UNUSED_PAD src0_sel:DWORD src1_sel:BYTE_0
	global_load_dwordx4 v[59:62], v46, s[12:13] offset:80
	global_load_dwordx4 v[63:66], v46, s[12:13] offset:96
	;; [unrolled: 1-line block ×4, first 2 shown]
	global_load_dwordx4 v[75:78], v46, s[12:13]
	global_load_dwordx4 v[79:82], v46, s[12:13] offset:32
	global_load_dwordx4 v[83:86], v46, s[12:13] offset:48
	;; [unrolled: 1-line block ×3, first 2 shown]
	s_mov_b32 s6, 0xbf7ba420
	s_mov_b32 s8, 0x3f6eb680
	;; [unrolled: 1-line block ×8, first 2 shown]
	s_waitcnt vmcnt(7)
	v_mul_f32_e32 v48, v10, v60
	s_waitcnt vmcnt(6)
	v_mul_f32_e32 v51, v16, v66
	;; [unrolled: 2-line block ×3, first 2 shown]
	v_mul_f32_e32 v49, v18, v68
	s_waitcnt vmcnt(3)
	v_mul_f32_e32 v55, v2, v76
	v_mul_f32_e32 v54, v20, v78
	v_fmac_f32_e32 v46, v43, v69
	v_fmac_f32_e32 v55, v3, v75
	v_mul_f32_e32 v60, v11, v60
	v_mul_f32_e32 v50, v28, v62
	;; [unrolled: 1-line block ×7, first 2 shown]
	v_fmac_f32_e32 v51, v17, v65
	v_fmac_f32_e32 v49, v19, v67
	;; [unrolled: 1-line block ×3, first 2 shown]
	v_add_f32_e32 v17, v55, v46
	v_mul_f32_e32 v47, v30, v64
	v_mul_f32_e32 v64, v31, v64
	;; [unrolled: 1-line block ×4, first 2 shown]
	v_fmac_f32_e32 v48, v11, v59
	v_fma_f32 v59, v10, v59, -v60
	v_fmac_f32_e32 v50, v29, v61
	v_fma_f32 v60, v28, v61, -v91
	v_fma_f32 v61, v18, v67, -v68
	;; [unrolled: 1-line block ×4, first 2 shown]
	v_add_f32_e32 v18, v54, v49
	v_mul_f32_e32 v10, 0xbf1a4643, v17
	v_mul_f32_e32 v53, v4, v74
	s_waitcnt vmcnt(1)
	v_mul_f32_e32 v58, v14, v84
	v_mul_f32_e32 v84, v15, v84
	v_fma_f32 v30, v30, v63, -v64
	v_fmac_f32_e32 v52, v23, v71
	v_fma_f32 v64, v20, v77, -v78
	v_sub_f32_e32 v77, v67, v42
	v_mul_f32_e32 v11, 0xbe8c1d8e, v18
	v_mov_b32_e32 v2, v10
	v_mul_f32_e32 v72, v23, v72
	v_mul_f32_e32 v56, v6, v80
	;; [unrolled: 1-line block ×4, first 2 shown]
	v_fmac_f32_e32 v47, v31, v63
	v_fmac_f32_e32 v53, v5, v73
	v_fma_f32 v68, v14, v83, -v84
	v_sub_f32_e32 v76, v64, v61
	v_add_f32_e32 v14, v52, v51
	v_mov_b32_e32 v3, v11
	v_fmac_f32_e32 v2, 0x3f4c4adb, v77
	v_mul_f32_e32 v74, v5, v74
	v_fma_f32 v31, v16, v65, -v66
	v_fma_f32 v43, v22, v71, -v72
	v_fmac_f32_e32 v56, v7, v79
	v_fma_f32 v66, v12, v81, -v82
	v_fmac_f32_e32 v58, v15, v83
	v_add_f32_e32 v15, v53, v47
	v_mul_f32_e32 v12, 0x3f6eb680, v14
	v_fmac_f32_e32 v3, 0xbf763a35, v76
	v_add_f32_e32 v2, v1, v2
	v_mul_f32_e32 v80, v7, v80
	v_fma_f32 v63, v4, v73, -v74
	v_fmac_f32_e32 v57, v13, v81
	v_sub_f32_e32 v75, v43, v31
	v_add_f32_e32 v16, v56, v50
	v_mul_f32_e32 v13, 0xbf59a7d5, v15
	v_mov_b32_e32 v4, v12
	v_add_f32_e32 v2, v3, v2
	s_waitcnt vmcnt(0)
	v_mul_f32_e32 v3, v9, v90
	v_fma_f32 v65, v6, v79, -v80
	v_sub_f32_e32 v74, v63, v30
	v_mov_b32_e32 v5, v13
	v_fmac_f32_e32 v4, 0x3eb8f4ab, v75
	v_mul_f32_e32 v72, v8, v90
	v_fma_f32 v70, v8, v89, -v3
	v_mul_f32_e32 v3, v27, v88
	v_mul_f32_e32 v90, 0x3dbcf732, v16
	v_fmac_f32_e32 v5, 0x3f06c442, v74
	v_add_f32_e32 v2, v4, v2
	v_fma_f32 v71, v26, v87, -v3
	v_sub_f32_e32 v78, v65, v60
	v_mov_b32_e32 v3, v90
	v_add_f32_e32 v19, v57, v48
	v_add_f32_e32 v2, v5, v2
	v_fmac_f32_e32 v72, v9, v89
	v_fmac_f32_e32 v3, 0xbf7ee86f, v78
	v_mul_f32_e32 v91, 0x3f3d2fb0, v19
	v_add_f32_e32 v2, v3, v2
	v_sub_f32_e32 v79, v66, v59
	v_mov_b32_e32 v3, v91
	v_add_f32_e32 v20, v58, v72
	v_fmac_f32_e32 v3, 0x3f2c7751, v79
	v_mul_f32_e32 v92, 0xbf7ba420, v20
	v_add_f32_e32 v2, v3, v2
	v_sub_f32_e32 v80, v68, v70
	v_mov_b32_e32 v3, v92
	v_sub_f32_e32 v81, v55, v46
	v_fmac_f32_e32 v3, 0x3e3c28d5, v80
	v_mul_f32_e32 v93, 0xbf4c4adb, v81
	v_sub_f32_e32 v82, v54, v49
	v_add_f32_e32 v2, v3, v2
	v_add_f32_e32 v21, v67, v42
	v_mov_b32_e32 v3, v93
	v_mul_f32_e32 v94, 0x3f763a35, v82
	v_fmac_f32_e32 v3, 0xbf1a4643, v21
	v_add_f32_e32 v22, v64, v61
	v_mov_b32_e32 v4, v94
	v_sub_f32_e32 v83, v52, v51
	v_add_f32_e32 v3, v0, v3
	v_fmac_f32_e32 v4, 0xbe8c1d8e, v22
	v_mul_f32_e32 v95, 0xbeb8f4ab, v83
	v_add_f32_e32 v3, v4, v3
	v_add_f32_e32 v23, v43, v31
	v_mov_b32_e32 v4, v95
	v_sub_f32_e32 v84, v53, v47
	v_mul_f32_e32 v62, v24, v86
	v_mul_f32_e32 v86, v25, v86
	v_fmac_f32_e32 v4, 0x3f6eb680, v23
	v_mul_f32_e32 v96, 0xbf06c442, v84
	v_fmac_f32_e32 v62, v25, v85
	v_fma_f32 v69, v24, v85, -v86
	v_add_f32_e32 v3, v4, v3
	v_add_f32_e32 v24, v63, v30
	v_mov_b32_e32 v4, v96
	v_sub_f32_e32 v85, v56, v50
	v_fmac_f32_e32 v4, 0xbf59a7d5, v24
	v_mul_f32_e32 v97, 0x3f7ee86f, v85
	v_add_f32_e32 v3, v4, v3
	v_add_f32_e32 v25, v65, v60
	v_mov_b32_e32 v4, v97
	v_sub_f32_e32 v86, v57, v48
	v_mul_f32_e32 v73, v26, v88
	v_fmac_f32_e32 v4, 0x3dbcf732, v25
	v_mul_f32_e32 v98, 0xbf2c7751, v86
	v_fmac_f32_e32 v73, v27, v87
	v_add_f32_e32 v3, v4, v3
	v_add_f32_e32 v26, v66, v59
	v_mov_b32_e32 v4, v98
	v_sub_f32_e32 v87, v58, v72
	v_fmac_f32_e32 v4, 0x3f3d2fb0, v26
	v_mul_f32_e32 v99, 0xbe3c28d5, v87
	v_add_f32_e32 v3, v4, v3
	v_add_f32_e32 v27, v68, v70
	v_mov_b32_e32 v4, v99
	v_add_f32_e32 v29, v62, v73
	v_fmac_f32_e32 v4, 0xbf7ba420, v27
	v_mul_f32_e32 v100, 0x3ee437d1, v29
	v_add_f32_e32 v4, v4, v3
	v_sub_f32_e32 v88, v69, v71
	v_mov_b32_e32 v3, v100
	v_sub_f32_e32 v89, v62, v73
	v_fmac_f32_e32 v3, 0xbf65296c, v88
	v_mul_f32_e32 v101, 0x3f65296c, v89
	v_add_f32_e32 v3, v3, v2
	v_add_f32_e32 v28, v69, v71
	v_mov_b32_e32 v2, v101
	v_fmac_f32_e32 v2, 0x3ee437d1, v28
	v_mul_f32_e32 v6, 0xbf7ba420, v17
	v_add_f32_e32 v2, v2, v4
	v_mov_b32_e32 v4, v6
	v_mul_f32_e32 v7, 0x3f6eb680, v18
	v_fmac_f32_e32 v4, 0x3e3c28d5, v77
	v_mov_b32_e32 v5, v7
	v_add_f32_e32 v4, v1, v4
	v_fmac_f32_e32 v5, 0xbeb8f4ab, v76
	v_mul_f32_e32 v8, 0xbf59a7d5, v14
	v_add_f32_e32 v4, v5, v4
	v_mov_b32_e32 v5, v8
	v_fmac_f32_e32 v5, 0x3f06c442, v75
	v_mul_f32_e32 v9, 0x3f3d2fb0, v15
	v_add_f32_e32 v4, v5, v4
	v_mov_b32_e32 v5, v9
	;; [unrolled: 4-line block ×6, first 2 shown]
	v_mul_f32_e32 v106, 0x3eb8f4ab, v82
	v_fmac_f32_e32 v5, 0xbf7ba420, v21
	v_mov_b32_e32 v107, v106
	v_add_f32_e32 v5, v0, v5
	v_fmac_f32_e32 v107, 0x3f6eb680, v22
	v_add_f32_e32 v5, v107, v5
	v_mul_f32_e32 v107, 0xbf06c442, v83
	v_mov_b32_e32 v108, v107
	v_fmac_f32_e32 v108, 0xbf59a7d5, v23
	v_add_f32_e32 v5, v108, v5
	v_mul_f32_e32 v108, 0x3f2c7751, v84
	v_mov_b32_e32 v109, v108
	;; [unrolled: 4-line block ×3, first 2 shown]
	v_fmac_f32_e32 v6, 0xbe3c28d5, v77
	v_fmac_f32_e32 v110, 0xbf1a4643, v25
	v_add_f32_e32 v6, v1, v6
	v_fmac_f32_e32 v7, 0x3eb8f4ab, v76
	v_add_f32_e32 v5, v110, v5
	v_mul_f32_e32 v110, 0x3f65296c, v86
	v_add_f32_e32 v6, v7, v6
	v_fmac_f32_e32 v8, 0xbf06c442, v75
	v_fma_f32 v7, v21, s6, -v105
	v_mov_b32_e32 v111, v110
	v_add_f32_e32 v6, v8, v6
	v_add_f32_e32 v7, v0, v7
	v_fma_f32 v8, v22, s8, -v106
	v_fmac_f32_e32 v111, 0x3ee437d1, v26
	v_fmac_f32_e32 v9, 0x3f2c7751, v74
	v_add_f32_e32 v7, v8, v7
	v_fma_f32 v8, v23, s7, -v107
	v_add_f32_e32 v5, v111, v5
	v_mul_f32_e32 v111, 0xbf763a35, v87
	v_add_f32_e32 v6, v9, v6
	v_fmac_f32_e32 v102, 0xbf4c4adb, v78
	v_add_f32_e32 v7, v8, v7
	v_fma_f32 v8, v24, s14, -v108
	v_mov_b32_e32 v112, v111
	v_add_f32_e32 v6, v102, v6
	v_fmac_f32_e32 v103, 0x3f65296c, v79
	v_add_f32_e32 v7, v8, v7
	v_fma_f32 v8, v25, s9, -v109
	v_fmac_f32_e32 v112, 0xbe8c1d8e, v27
	v_mul_f32_e32 v113, 0x3dbcf732, v29
	v_add_f32_e32 v6, v103, v6
	v_fmac_f32_e32 v104, 0xbf763a35, v80
	v_add_f32_e32 v7, v8, v7
	v_fma_f32 v8, v26, s16, -v110
	v_add_f32_e32 v112, v112, v5
	v_mov_b32_e32 v5, v113
	v_mul_f32_e32 v114, 0x3f7ee86f, v89
	v_add_f32_e32 v6, v104, v6
	v_add_f32_e32 v7, v8, v7
	v_fma_f32 v8, v27, s15, -v111
	v_fmac_f32_e32 v113, 0x3f7ee86f, v88
	v_add_f32_e32 v8, v8, v7
	v_add_f32_e32 v7, v113, v6
	v_fma_f32 v6, v28, s17, -v114
	v_mul_f32_e32 v102, 0xbf06c442, v77
	v_add_f32_e32 v6, v6, v8
	v_mov_b32_e32 v8, v102
	v_mul_f32_e32 v103, 0x3f65296c, v76
	v_fmac_f32_e32 v8, 0xbf59a7d5, v17
	v_mov_b32_e32 v9, v103
	v_add_f32_e32 v8, v1, v8
	v_fmac_f32_e32 v9, 0x3ee437d1, v18
	v_mul_f32_e32 v104, 0xbf7ee86f, v75
	v_add_f32_e32 v8, v9, v8
	v_mov_b32_e32 v9, v104
	v_fmac_f32_e32 v9, 0x3dbcf732, v14
	v_mul_f32_e32 v105, 0x3f4c4adb, v74
	v_add_f32_e32 v8, v9, v8
	v_mov_b32_e32 v9, v105
	;; [unrolled: 4-line block ×3, first 2 shown]
	v_fmac_f32_e32 v9, 0x3f6eb680, v16
	v_mul_f32_e32 v107, 0xbe3c28d5, v79
	v_fmac_f32_e32 v10, 0xbf4c4adb, v77
	v_add_f32_e32 v8, v9, v8
	v_mov_b32_e32 v9, v107
	v_add_f32_e32 v10, v1, v10
	v_fmac_f32_e32 v11, 0x3f763a35, v76
	v_fmac_f32_e32 v9, 0xbf7ba420, v19
	v_mul_f32_e32 v108, 0x3f2c7751, v80
	v_add_f32_e32 v10, v11, v10
	v_fmac_f32_e32 v12, 0xbeb8f4ab, v75
	v_fma_f32 v11, v21, s9, -v93
	v_add_f32_e32 v8, v9, v8
	v_mov_b32_e32 v9, v108
	v_add_f32_e32 v10, v12, v10
	v_add_f32_e32 v11, v0, v11
	v_fma_f32 v12, v22, s15, -v94
	v_fmac_f32_e32 v9, 0x3f3d2fb0, v20
	v_mul_f32_e32 v109, 0xbf06c442, v81
	v_fmac_f32_e32 v13, 0xbf06c442, v74
	v_add_f32_e32 v11, v12, v11
	v_fma_f32 v12, v23, s8, -v95
	v_fmac_f32_e32 v5, 0xbf7ee86f, v88
	v_add_f32_e32 v8, v9, v8
	v_fma_f32 v9, v21, s7, -v109
	v_mul_f32_e32 v110, 0x3f65296c, v82
	v_add_f32_e32 v10, v13, v10
	v_fmac_f32_e32 v90, 0x3f7ee86f, v78
	v_add_f32_e32 v11, v12, v11
	v_fma_f32 v12, v24, s7, -v96
	v_add_f32_e32 v5, v5, v4
	v_mov_b32_e32 v4, v114
	v_add_f32_e32 v9, v0, v9
	v_fma_f32 v111, v22, s16, -v110
	v_add_f32_e32 v10, v90, v10
	v_fmac_f32_e32 v91, 0xbf2c7751, v79
	v_add_f32_e32 v11, v12, v11
	v_fma_f32 v12, v25, s17, -v97
	v_fmac_f32_e32 v4, 0x3dbcf732, v28
	v_add_f32_e32 v9, v111, v9
	v_mul_f32_e32 v111, 0xbf7ee86f, v83
	v_add_f32_e32 v10, v91, v10
	v_fmac_f32_e32 v92, 0xbe3c28d5, v80
	v_add_f32_e32 v11, v12, v11
	v_fma_f32 v12, v26, s14, -v98
	v_add_f32_e32 v4, v4, v112
	v_fma_f32 v112, v23, s17, -v111
	v_add_f32_e32 v10, v92, v10
	v_add_f32_e32 v11, v12, v11
	v_fma_f32 v12, v27, s6, -v99
	v_fmac_f32_e32 v100, 0x3f65296c, v88
	v_add_f32_e32 v9, v112, v9
	v_mul_f32_e32 v112, 0x3f4c4adb, v84
	v_add_f32_e32 v12, v12, v11
	v_add_f32_e32 v11, v100, v10
	v_fma_f32 v10, v28, s16, -v101
	v_mul_f32_e32 v96, 0xbf763a35, v77
	v_fma_f32 v113, v24, s9, -v112
	v_add_f32_e32 v10, v10, v12
	v_mov_b32_e32 v12, v96
	v_mul_f32_e32 v97, 0x3f06c442, v76
	v_add_f32_e32 v9, v113, v9
	v_mul_f32_e32 v113, 0xbeb8f4ab, v85
	v_fmac_f32_e32 v12, 0xbe8c1d8e, v17
	v_mov_b32_e32 v13, v97
	v_fma_f32 v114, v25, s8, -v113
	v_add_f32_e32 v12, v1, v12
	v_fmac_f32_e32 v13, 0xbf59a7d5, v18
	v_mul_f32_e32 v98, 0x3f2c7751, v75
	v_add_f32_e32 v9, v114, v9
	v_mul_f32_e32 v114, 0xbe3c28d5, v86
	v_add_f32_e32 v12, v13, v12
	v_mov_b32_e32 v13, v98
	v_fma_f32 v115, v26, s6, -v114
	v_fmac_f32_e32 v13, 0x3f3d2fb0, v14
	v_mul_f32_e32 v99, 0xbf65296c, v74
	v_add_f32_e32 v9, v115, v9
	v_mul_f32_e32 v115, 0x3f2c7751, v87
	v_add_f32_e32 v12, v13, v12
	v_mov_b32_e32 v13, v99
	v_fma_f32 v116, v27, s14, -v115
	v_mul_f32_e32 v117, 0xbf763a35, v88
	v_fmac_f32_e32 v13, 0x3ee437d1, v15
	v_mul_f32_e32 v100, 0xbe3c28d5, v78
	v_add_f32_e32 v116, v116, v9
	v_mov_b32_e32 v9, v117
	v_add_f32_e32 v12, v13, v12
	v_mov_b32_e32 v13, v100
	v_fmac_f32_e32 v9, 0xbe8c1d8e, v29
	v_mul_f32_e32 v118, 0xbf763a35, v89
	v_fmac_f32_e32 v13, 0xbf7ba420, v16
	v_mul_f32_e32 v101, 0x3f7ee86f, v79
	v_add_f32_e32 v9, v9, v8
	v_fma_f32 v8, v28, s15, -v118
	v_add_f32_e32 v12, v13, v12
	v_mov_b32_e32 v13, v101
	v_add_f32_e32 v8, v8, v116
	v_fmac_f32_e32 v13, 0x3dbcf732, v19
	v_mul_f32_e32 v116, 0xbeb8f4ab, v80
	v_add_f32_e32 v12, v13, v12
	v_mov_b32_e32 v13, v116
	v_fmac_f32_e32 v13, 0x3f6eb680, v20
	v_mul_f32_e32 v119, 0xbf763a35, v81
	v_add_f32_e32 v12, v13, v12
	v_fma_f32 v13, v21, s15, -v119
	v_mul_f32_e32 v120, 0x3f06c442, v82
	v_add_f32_e32 v13, v0, v13
	v_fma_f32 v90, v22, s7, -v120
	;; [unrolled: 3-line block ×7, first 2 shown]
	v_mul_f32_e32 v126, 0xbf4c4adb, v88
	v_add_f32_e32 v90, v90, v13
	v_mov_b32_e32 v13, v126
	v_fmac_f32_e32 v13, 0xbf1a4643, v29
	v_mul_f32_e32 v127, 0xbf4c4adb, v89
	v_add_f32_e32 v13, v13, v12
	v_fma_f32 v12, v28, s9, -v127
	v_mul_f32_e32 v128, 0xbf7ee86f, v77
	v_add_f32_e32 v12, v12, v90
	v_mov_b32_e32 v90, v128
	v_mul_f32_e32 v129, 0xbe3c28d5, v76
	v_fmac_f32_e32 v90, 0x3dbcf732, v17
	v_mov_b32_e32 v91, v129
	v_add_f32_e32 v90, v1, v90
	v_fmac_f32_e32 v91, 0xbf7ba420, v18
	v_mul_f32_e32 v130, 0x3f763a35, v75
	v_add_f32_e32 v90, v91, v90
	v_mov_b32_e32 v91, v130
	v_add_f32_e32 v55, v1, v55
	v_fmac_f32_e32 v91, 0xbe8c1d8e, v14
	v_mul_f32_e32 v131, 0x3eb8f4ab, v74
	v_add_f32_e32 v54, v55, v54
	v_add_f32_e32 v90, v91, v90
	v_mov_b32_e32 v91, v131
	v_add_f32_e32 v52, v54, v52
	v_fmac_f32_e32 v91, 0x3f6eb680, v15
	v_mul_f32_e32 v132, 0xbf65296c, v78
	v_add_f32_e32 v52, v52, v53
	;; [unrolled: 6-line block ×5, first 2 shown]
	v_add_f32_e32 v90, v91, v90
	v_fma_f32 v91, v21, s17, -v135
	v_mul_f32_e32 v136, 0xbe3c28d5, v82
	v_add_f32_e32 v48, v52, v48
	v_add_f32_e32 v91, v0, v91
	v_fma_f32 v92, v22, s6, -v136
	v_mul_f32_e32 v137, 0x3f763a35, v83
	v_add_f32_e32 v48, v48, v50
	;; [unrolled: 4-line block ×3, first 2 shown]
	v_add_f32_e32 v48, v0, v67
	v_add_f32_e32 v91, v92, v91
	v_fma_f32 v92, v24, s8, -v138
	v_mul_f32_e32 v139, 0xbf65296c, v85
	v_add_f32_e32 v48, v48, v64
	v_add_f32_e32 v91, v92, v91
	v_fma_f32 v92, v25, s16, -v139
	v_mul_f32_e32 v140, 0xbf06c442, v86
	;; [unrolled: 4-line block ×4, first 2 shown]
	v_add_f32_e32 v43, v43, v65
	v_add_f32_e32 v92, v92, v91
	v_mov_b32_e32 v91, v142
	v_add_f32_e32 v43, v43, v66
	v_fmac_f32_e32 v91, 0x3f3d2fb0, v29
	v_mul_f32_e32 v143, 0x3f2c7751, v89
	v_add_f32_e32 v43, v43, v68
	v_add_f32_e32 v91, v91, v90
	v_fma_f32 v90, v28, s14, -v143
	v_mul_f32_e32 v144, 0xbf65296c, v77
	v_add_f32_e32 v43, v43, v69
	v_add_f32_e32 v90, v90, v92
	v_mov_b32_e32 v92, v144
	v_mul_f32_e32 v145, 0xbf4c4adb, v76
	v_add_f32_e32 v43, v43, v71
	v_fmac_f32_e32 v92, 0x3ee437d1, v17
	v_mov_b32_e32 v93, v145
	v_add_f32_e32 v43, v43, v70
	v_add_f32_e32 v92, v1, v92
	v_fmac_f32_e32 v93, 0xbf1a4643, v18
	v_mul_f32_e32 v146, 0x3e3c28d5, v75
	v_add_f32_e32 v43, v43, v59
	v_add_f32_e32 v92, v93, v92
	v_mov_b32_e32 v93, v146
	v_add_f32_e32 v43, v43, v60
	v_fmac_f32_e32 v93, 0xbf7ba420, v14
	v_mul_f32_e32 v147, 0x3f763a35, v74
	v_add_f32_e32 v30, v43, v30
	v_add_f32_e32 v92, v93, v92
	v_mov_b32_e32 v93, v147
	;; [unrolled: 6-line block ×3, first 2 shown]
	v_add_f32_e32 v30, v30, v42
	v_fma_f32 v42, v17, s7, -v102
	v_fmac_f32_e32 v93, 0x3f3d2fb0, v16
	v_mul_f32_e32 v149, 0xbeb8f4ab, v79
	v_add_f32_e32 v42, v1, v42
	v_fma_f32 v43, v18, s16, -v103
	v_add_f32_e32 v92, v93, v92
	v_mov_b32_e32 v93, v149
	v_add_f32_e32 v42, v43, v42
	v_fma_f32 v43, v14, s17, -v104
	v_fmac_f32_e32 v93, 0x3f6eb680, v19
	v_mul_f32_e32 v150, 0xbf7ee86f, v80
	v_add_f32_e32 v42, v43, v42
	v_fma_f32 v43, v15, s9, -v105
	v_add_f32_e32 v92, v93, v92
	v_mov_b32_e32 v93, v150
	v_add_f32_e32 v42, v43, v42
	v_fma_f32 v43, v16, s8, -v106
	v_fmac_f32_e32 v93, 0x3dbcf732, v20
	v_mul_f32_e32 v151, 0xbf65296c, v81
	v_add_f32_e32 v42, v43, v42
	v_fma_f32 v43, v19, s6, -v107
	v_add_f32_e32 v92, v93, v92
	v_fma_f32 v93, v21, s16, -v151
	v_mul_f32_e32 v152, 0xbf4c4adb, v82
	v_add_f32_e32 v42, v43, v42
	v_fma_f32 v43, v20, s14, -v108
	v_fmac_f32_e32 v109, 0xbf59a7d5, v21
	v_add_f32_e32 v93, v0, v93
	v_fma_f32 v94, v22, s9, -v152
	v_mul_f32_e32 v153, 0x3e3c28d5, v83
	v_add_f32_e32 v42, v43, v42
	v_add_f32_e32 v43, v0, v109
	v_fmac_f32_e32 v110, 0x3ee437d1, v22
	v_add_f32_e32 v93, v94, v93
	v_fma_f32 v94, v23, s6, -v153
	v_mul_f32_e32 v154, 0x3f763a35, v84
	v_add_f32_e32 v43, v110, v43
	v_fmac_f32_e32 v111, 0x3dbcf732, v23
	v_add_f32_e32 v93, v94, v93
	v_fma_f32 v94, v24, s15, -v154
	v_mul_f32_e32 v155, 0x3f2c7751, v85
	;; [unrolled: 5-line block ×4, first 2 shown]
	v_add_f32_e32 v47, v47, v51
	v_add_f32_e32 v43, v113, v43
	v_fmac_f32_e32 v114, 0xbf7ba420, v26
	v_add_f32_e32 v93, v94, v93
	v_fma_f32 v94, v27, s17, -v157
	v_mul_f32_e32 v158, 0xbf06c442, v88
	v_add_f32_e32 v47, v47, v49
	v_add_f32_e32 v43, v114, v43
	v_fmac_f32_e32 v115, 0x3f3d2fb0, v27
	v_add_f32_e32 v94, v94, v93
	v_mov_b32_e32 v93, v158
	v_add_f32_e32 v31, v47, v46
	v_add_f32_e32 v46, v115, v43
	v_fma_f32 v43, v29, s15, -v117
	v_fmac_f32_e32 v118, 0xbe8c1d8e, v28
	v_fmac_f32_e32 v93, 0xbf59a7d5, v29
	v_mul_f32_e32 v159, 0xbf06c442, v89
	v_add_f32_e32 v43, v43, v42
	v_add_f32_e32 v42, v118, v46
	v_fma_f32 v46, v17, s15, -v96
	v_add_f32_e32 v93, v93, v92
	v_fma_f32 v92, v28, s7, -v159
	v_mul_f32_e32 v160, 0xbf2c7751, v77
	v_add_f32_e32 v46, v1, v46
	v_fma_f32 v47, v18, s7, -v97
	v_add_f32_e32 v92, v92, v94
	v_mov_b32_e32 v94, v160
	v_mul_f32_e32 v161, 0xbf7ee86f, v76
	v_add_f32_e32 v46, v47, v46
	v_fma_f32 v47, v14, s14, -v98
	v_fmac_f32_e32 v94, 0x3f3d2fb0, v17
	v_mov_b32_e32 v95, v161
	v_add_f32_e32 v46, v47, v46
	v_fma_f32 v47, v15, s16, -v99
	v_add_f32_e32 v94, v1, v94
	v_fmac_f32_e32 v95, 0x3dbcf732, v18
	v_mul_f32_e32 v162, 0xbf4c4adb, v75
	v_add_f32_e32 v46, v47, v46
	v_fma_f32 v47, v16, s6, -v100
	v_add_f32_e32 v94, v95, v94
	v_mov_b32_e32 v95, v162
	v_add_f32_e32 v46, v47, v46
	v_fma_f32 v47, v19, s17, -v101
	v_fmac_f32_e32 v95, 0xbf1a4643, v14
	v_mul_f32_e32 v163, 0xbe3c28d5, v74
	v_add_f32_e32 v46, v47, v46
	v_fma_f32 v47, v20, s8, -v116
	v_fmac_f32_e32 v119, 0xbe8c1d8e, v21
	v_add_f32_e32 v94, v95, v94
	v_mov_b32_e32 v95, v163
	v_add_f32_e32 v46, v47, v46
	v_add_f32_e32 v47, v0, v119
	v_fmac_f32_e32 v120, 0xbf59a7d5, v22
	v_fmac_f32_e32 v95, 0xbf7ba420, v15
	v_mul_f32_e32 v164, 0x3f06c442, v78
	v_add_f32_e32 v47, v120, v47
	v_fmac_f32_e32 v121, 0x3f3d2fb0, v23
	v_add_f32_e32 v94, v95, v94
	v_mov_b32_e32 v95, v164
	v_add_f32_e32 v47, v121, v47
	v_fmac_f32_e32 v122, 0x3ee437d1, v24
	v_fmac_f32_e32 v95, 0xbf59a7d5, v16
	v_mul_f32_e32 v165, 0x3f763a35, v79
	v_add_f32_e32 v47, v122, v47
	v_fmac_f32_e32 v123, 0xbf7ba420, v25
	v_add_f32_e32 v94, v95, v94
	v_mov_b32_e32 v95, v165
	;; [unrolled: 8-line block ×3, first 2 shown]
	v_add_f32_e32 v48, v125, v47
	v_fma_f32 v47, v29, s9, -v126
	v_fmac_f32_e32 v127, 0xbf1a4643, v28
	v_fmac_f32_e32 v95, 0x3ee437d1, v20
	v_mul_f32_e32 v167, 0xbf2c7751, v81
	v_add_f32_e32 v47, v47, v46
	v_add_f32_e32 v46, v127, v48
	v_fma_f32 v48, v17, s17, -v128
	v_add_f32_e32 v94, v95, v94
	v_fma_f32 v95, v21, s14, -v167
	v_mul_f32_e32 v168, 0xbf7ee86f, v82
	v_add_f32_e32 v48, v1, v48
	v_fma_f32 v49, v18, s6, -v129
	v_add_f32_e32 v95, v0, v95
	v_fma_f32 v169, v22, s17, -v168
	;; [unrolled: 2-line block ×3, first 2 shown]
	v_add_f32_e32 v95, v169, v95
	v_mul_f32_e32 v169, 0xbf4c4adb, v83
	v_add_f32_e32 v48, v49, v48
	v_fma_f32 v49, v15, s8, -v131
	v_fma_f32 v170, v23, s9, -v169
	v_add_f32_e32 v48, v49, v48
	v_fma_f32 v49, v16, s16, -v132
	v_add_f32_e32 v95, v170, v95
	v_mul_f32_e32 v170, 0xbe3c28d5, v84
	v_add_f32_e32 v48, v49, v48
	v_fma_f32 v49, v19, s7, -v133
	v_fma_f32 v171, v24, s6, -v170
	v_add_f32_e32 v48, v49, v48
	v_fma_f32 v49, v20, s9, -v134
	v_fmac_f32_e32 v135, 0x3dbcf732, v21
	v_add_f32_e32 v95, v171, v95
	v_mul_f32_e32 v171, 0x3f06c442, v85
	v_add_f32_e32 v48, v49, v48
	v_add_f32_e32 v49, v0, v135
	v_fmac_f32_e32 v136, 0xbf7ba420, v22
	v_fma_f32 v172, v25, s7, -v171
	v_add_f32_e32 v49, v136, v49
	v_fmac_f32_e32 v137, 0xbe8c1d8e, v23
	v_add_f32_e32 v95, v172, v95
	v_mul_f32_e32 v172, 0x3f763a35, v86
	v_add_f32_e32 v49, v137, v49
	v_fmac_f32_e32 v138, 0x3f6eb680, v24
	v_fma_f32 v173, v26, s15, -v172
	v_add_f32_e32 v49, v138, v49
	v_fmac_f32_e32 v139, 0x3ee437d1, v25
	v_add_f32_e32 v95, v173, v95
	v_mul_f32_e32 v173, 0x3f65296c, v87
	v_add_f32_e32 v49, v139, v49
	v_fmac_f32_e32 v140, 0xbf59a7d5, v26
	v_fma_f32 v174, v27, s16, -v173
	v_mul_f32_e32 v175, 0x3eb8f4ab, v88
	v_add_f32_e32 v49, v140, v49
	v_fmac_f32_e32 v141, 0xbf1a4643, v27
	v_add_f32_e32 v174, v174, v95
	v_mov_b32_e32 v95, v175
	v_add_f32_e32 v50, v141, v49
	v_fma_f32 v49, v29, s14, -v142
	v_fmac_f32_e32 v143, 0x3f3d2fb0, v28
	v_fmac_f32_e32 v95, 0x3f6eb680, v29
	v_mul_f32_e32 v176, 0x3eb8f4ab, v89
	v_add_f32_e32 v49, v49, v48
	v_add_f32_e32 v48, v143, v50
	v_fma_f32 v50, v17, s16, -v144
	v_add_f32_e32 v95, v95, v94
	v_fma_f32 v94, v28, s8, -v176
	v_mul_f32_e32 v77, 0xbeb8f4ab, v77
	v_add_f32_e32 v50, v1, v50
	v_fma_f32 v51, v18, s9, -v145
	v_add_f32_e32 v94, v94, v174
	v_mov_b32_e32 v174, v77
	v_mul_f32_e32 v76, 0xbf2c7751, v76
	v_add_f32_e32 v50, v51, v50
	v_fma_f32 v51, v14, s6, -v146
	v_fmac_f32_e32 v174, 0x3f6eb680, v17
	v_mov_b32_e32 v177, v76
	v_add_f32_e32 v50, v51, v50
	v_fma_f32 v51, v15, s15, -v147
	v_add_f32_e32 v174, v1, v174
	v_fmac_f32_e32 v177, 0x3f3d2fb0, v18
	v_add_f32_e32 v50, v51, v50
	v_fma_f32 v51, v16, s14, -v148
	v_add_f32_e32 v174, v177, v174
	v_mul_f32_e32 v177, 0xbf65296c, v75
	v_add_f32_e32 v50, v51, v50
	v_fma_f32 v51, v19, s8, -v149
	v_mov_b32_e32 v75, v177
	v_add_f32_e32 v50, v51, v50
	v_fma_f32 v51, v20, s17, -v150
	v_fmac_f32_e32 v151, 0x3ee437d1, v21
	v_fmac_f32_e32 v75, 0x3ee437d1, v14
	v_add_f32_e32 v50, v51, v50
	v_add_f32_e32 v51, v0, v151
	v_fmac_f32_e32 v152, 0xbf1a4643, v22
	v_add_f32_e32 v75, v75, v174
	v_mul_f32_e32 v174, 0xbf7ee86f, v74
	v_add_f32_e32 v51, v152, v51
	v_fmac_f32_e32 v153, 0xbf7ba420, v23
	v_mov_b32_e32 v74, v174
	v_add_f32_e32 v51, v153, v51
	v_fmac_f32_e32 v154, 0xbe8c1d8e, v24
	v_fmac_f32_e32 v74, 0x3dbcf732, v15
	v_mul_f32_e32 v78, 0xbf763a35, v78
	v_add_f32_e32 v51, v154, v51
	v_fmac_f32_e32 v155, 0x3f3d2fb0, v25
	v_add_f32_e32 v74, v74, v75
	v_mov_b32_e32 v75, v78
	v_add_f32_e32 v51, v155, v51
	v_fmac_f32_e32 v156, 0x3f6eb680, v26
	v_fmac_f32_e32 v75, 0xbe8c1d8e, v16
	v_mul_f32_e32 v79, 0xbf4c4adb, v79
	v_add_f32_e32 v51, v156, v51
	v_fmac_f32_e32 v157, 0x3dbcf732, v27
	v_add_f32_e32 v74, v75, v74
	v_mov_b32_e32 v75, v79
	v_add_f32_e32 v52, v157, v51
	v_fma_f32 v51, v29, s7, -v158
	v_fmac_f32_e32 v159, 0xbf59a7d5, v28
	v_fmac_f32_e32 v75, 0xbf1a4643, v19
	v_mul_f32_e32 v80, 0xbf06c442, v80
	v_add_f32_e32 v51, v51, v50
	v_add_f32_e32 v50, v159, v52
	v_fma_f32 v52, v17, s14, -v160
	v_add_f32_e32 v74, v75, v74
	v_mov_b32_e32 v75, v80
	v_add_f32_e32 v52, v1, v52
	v_fma_f32 v53, v18, s17, -v161
	v_fmac_f32_e32 v75, 0xbf59a7d5, v20
	v_mul_f32_e32 v81, 0xbeb8f4ab, v81
	v_add_f32_e32 v52, v53, v52
	v_fma_f32 v53, v14, s9, -v162
	v_add_f32_e32 v74, v75, v74
	v_fma_f32 v75, v21, s8, -v81
	v_mul_f32_e32 v82, 0xbf2c7751, v82
	v_add_f32_e32 v52, v53, v52
	v_fma_f32 v53, v15, s6, -v163
	v_add_f32_e32 v75, v0, v75
	v_fma_f32 v178, v22, s14, -v82
	v_mul_f32_e32 v83, 0xbf65296c, v83
	v_add_f32_e32 v52, v53, v52
	v_fma_f32 v53, v16, s7, -v164
	v_fma_f32 v17, v17, s8, -v77
	v_add_f32_e32 v75, v178, v75
	v_fma_f32 v178, v23, s16, -v83
	v_mul_f32_e32 v84, 0xbf7ee86f, v84
	v_add_f32_e32 v52, v53, v52
	v_fma_f32 v53, v19, s15, -v165
	v_fma_f32 v18, v18, s14, -v76
	v_add_f32_e32 v1, v1, v17
	v_add_f32_e32 v75, v178, v75
	v_fma_f32 v178, v24, s17, -v84
	v_mul_f32_e32 v85, 0xbf763a35, v85
	v_add_f32_e32 v52, v53, v52
	v_fma_f32 v53, v20, s16, -v166
	v_fmac_f32_e32 v167, 0x3f3d2fb0, v21
	v_add_f32_e32 v1, v18, v1
	v_fma_f32 v14, v14, s16, -v177
	v_fmac_f32_e32 v81, 0x3f6eb680, v21
	v_add_f32_e32 v75, v178, v75
	v_fma_f32 v178, v25, s15, -v85
	v_mul_f32_e32 v86, 0xbf4c4adb, v86
	v_add_f32_e32 v52, v53, v52
	v_add_f32_e32 v53, v0, v167
	v_fmac_f32_e32 v168, 0x3dbcf732, v22
	v_add_f32_e32 v1, v14, v1
	v_fma_f32 v14, v15, s17, -v174
	v_add_f32_e32 v0, v0, v81
	v_fmac_f32_e32 v82, 0x3f3d2fb0, v22
	v_add_f32_e32 v75, v178, v75
	v_fma_f32 v178, v26, s9, -v86
	v_mul_f32_e32 v87, 0xbf06c442, v87
	v_add_f32_e32 v53, v168, v53
	v_fmac_f32_e32 v169, 0xbf1a4643, v23
	v_add_f32_e32 v1, v14, v1
	v_fma_f32 v14, v16, s15, -v78
	v_add_f32_e32 v0, v82, v0
	v_fmac_f32_e32 v83, 0x3ee437d1, v23
	v_add_f32_e32 v75, v178, v75
	v_fma_f32 v178, v27, s7, -v87
	v_mul_f32_e32 v88, 0xbe3c28d5, v88
	v_add_f32_e32 v53, v169, v53
	v_fmac_f32_e32 v170, 0xbf7ba420, v24
	v_add_f32_e32 v1, v14, v1
	v_fma_f32 v14, v19, s9, -v79
	v_add_f32_e32 v0, v83, v0
	v_fmac_f32_e32 v84, 0x3dbcf732, v24
	v_add_f32_e32 v178, v178, v75
	v_mov_b32_e32 v75, v88
	v_add_f32_e32 v53, v170, v53
	v_fmac_f32_e32 v171, 0xbf59a7d5, v25
	v_add_f32_e32 v1, v14, v1
	v_fma_f32 v14, v20, s7, -v80
	v_add_f32_e32 v0, v84, v0
	v_fmac_f32_e32 v85, 0xbe8c1d8e, v25
	v_fmac_f32_e32 v75, 0xbf7ba420, v29
	v_mul_f32_e32 v89, 0xbe3c28d5, v89
	v_add_f32_e32 v53, v171, v53
	v_fmac_f32_e32 v172, 0xbe8c1d8e, v26
	v_add_f32_e32 v1, v14, v1
	v_fma_f32 v14, v29, s6, -v88
	v_add_f32_e32 v0, v85, v0
	v_fmac_f32_e32 v86, 0xbf1a4643, v26
	v_mov_b32_e32 v15, 3
	v_add_f32_e32 v75, v75, v74
	v_fma_f32 v74, v28, s6, -v89
	v_add_f32_e32 v53, v172, v53
	v_fmac_f32_e32 v173, 0x3ee437d1, v27
	v_add_f32_e32 v1, v14, v1
	v_add_f32_e32 v0, v86, v0
	v_fmac_f32_e32 v87, 0xbf59a7d5, v27
	v_mul_u32_u24_e32 v14, 0x198, v35
	v_lshlrev_b32_sdwa v15, v15, v45 dst_sel:DWORD dst_unused:UNUSED_PAD src0_sel:DWORD src1_sel:BYTE_0
	v_add_f32_e32 v74, v74, v178
	v_add_f32_e32 v54, v173, v53
	v_fma_f32 v53, v29, s8, -v175
	v_fmac_f32_e32 v176, 0x3f6eb680, v28
	v_add_f32_e32 v0, v87, v0
	v_fmac_f32_e32 v89, 0xbf7ba420, v28
	v_add3_u32 v14, 0, v14, v15
	v_add_f32_e32 v53, v53, v52
	v_add_f32_e32 v52, v176, v54
	;; [unrolled: 1-line block ×3, first 2 shown]
	ds_write2_b64 v14, v[30:31], v[74:75] offset1:3
	ds_write2_b64 v14, v[94:95], v[92:93] offset0:6 offset1:9
	ds_write2_b64 v14, v[90:91], v[12:13] offset0:12 offset1:15
	;; [unrolled: 1-line block ×7, first 2 shown]
	ds_write_b64 v14, v[0:1] offset:384
.LBB0_25:
	s_or_b64 exec, exec, s[4:5]
	v_mul_u32_u24_e32 v0, 6, v34
	v_lshlrev_b32_e32 v12, 3, v0
	s_waitcnt lgkmcnt(0)
	; wave barrier
	s_waitcnt lgkmcnt(0)
	global_load_dwordx4 v[0:3], v12, s[12:13] offset:384
	global_load_dwordx4 v[4:7], v12, s[12:13] offset:400
	;; [unrolled: 1-line block ×3, first 2 shown]
	v_add_u32_e32 v35, 0x800, v44
	ds_read2_b64 v[12:15], v44 offset1:51
	ds_read2_b64 v[16:19], v44 offset0:102 offset1:153
	ds_read2_b64 v[20:23], v44 offset0:204 offset1:255
	v_add_u32_e32 v53, 0xc00, v44
	v_add_u32_e32 v54, 0x1000, v44
	ds_read2_b64 v[24:27], v35 offset0:50 offset1:101
	ds_read2_b64 v[28:31], v35 offset0:152 offset1:203
	;; [unrolled: 1-line block ×4, first 2 shown]
	s_mov_b32 s4, 0x3f5ff5aa
	s_mov_b32 s5, 0x3f3bfb3b
	s_mov_b32 s6, 0xbf3bfb3b
	s_mov_b32 s7, 0xbeae86e6
	s_waitcnt lgkmcnt(0)
	; wave barrier
	s_waitcnt vmcnt(2) lgkmcnt(0)
	v_mul_f32_e32 v42, v1, v17
	v_mul_f32_e32 v43, v1, v16
	;; [unrolled: 1-line block ×4, first 2 shown]
	s_waitcnt vmcnt(1)
	v_mul_f32_e32 v57, v5, v25
	s_waitcnt vmcnt(0)
	v_mul_f32_e32 v61, v46, v9
	v_mul_f32_e32 v63, v50, v11
	;; [unrolled: 1-line block ×19, first 2 shown]
	v_fma_f32 v11, v0, v16, -v42
	v_fmac_f32_e32 v43, v0, v17
	v_fma_f32 v16, v2, v20, -v55
	v_fmac_f32_e32 v56, v2, v21
	v_fma_f32 v17, v4, v24, -v57
	v_fma_f32 v21, v45, v8, -v61
	;; [unrolled: 1-line block ×3, first 2 shown]
	v_fmac_f32_e32 v58, v4, v25
	v_fma_f32 v20, v6, v28, -v59
	v_fmac_f32_e32 v62, v46, v8
	v_fmac_f32_e32 v64, v50, v10
	v_fma_f32 v18, v18, v0, -v65
	v_fmac_f32_e32 v66, v19, v0
	v_fma_f32 v19, v22, v2, -v1
	v_fma_f32 v22, v26, v4, -v3
	v_fmac_f32_e32 v68, v27, v4
	v_add_f32_e32 v0, v11, v24
	v_add_f32_e32 v4, v16, v21
	v_fmac_f32_e32 v60, v6, v29
	v_fmac_f32_e32 v67, v23, v2
	v_fma_f32 v23, v30, v6, -v5
	v_fmac_f32_e32 v69, v31, v6
	v_fma_f32 v25, v47, v8, -v7
	;; [unrolled: 2-line block ×3, first 2 shown]
	v_fmac_f32_e32 v71, v52, v10
	v_add_f32_e32 v1, v43, v64
	v_add_f32_e32 v5, v56, v62
	v_sub_f32_e32 v6, v16, v21
	v_add_f32_e32 v8, v17, v20
	v_sub_f32_e32 v10, v20, v17
	;; [unrolled: 2-line block ×3, first 2 shown]
	v_sub_f32_e32 v7, v56, v62
	v_add_f32_e32 v9, v58, v60
	v_sub_f32_e32 v11, v60, v58
	v_add_f32_e32 v17, v5, v1
	v_sub_f32_e32 v20, v4, v0
	v_sub_f32_e32 v24, v0, v8
	;; [unrolled: 1-line block ×3, first 2 shown]
	v_add_f32_e32 v0, v10, v6
	v_add_f32_e32 v8, v8, v16
	v_sub_f32_e32 v3, v43, v64
	v_sub_f32_e32 v21, v5, v1
	;; [unrolled: 1-line block ×4, first 2 shown]
	v_add_f32_e32 v1, v11, v7
	v_sub_f32_e32 v28, v10, v6
	v_sub_f32_e32 v10, v2, v10
	;; [unrolled: 1-line block ×3, first 2 shown]
	v_add_f32_e32 v9, v9, v17
	v_add_f32_e32 v2, v0, v2
	;; [unrolled: 1-line block ×3, first 2 shown]
	v_sub_f32_e32 v29, v11, v7
	v_sub_f32_e32 v11, v3, v11
	;; [unrolled: 1-line block ×3, first 2 shown]
	v_add_f32_e32 v3, v1, v3
	v_add_f32_e32 v1, v9, v13
	v_mov_b32_e32 v30, v0
	v_mul_f32_e32 v12, 0x3f4a47b2, v24
	v_mul_f32_e32 v13, 0x3f4a47b2, v27
	v_mul_f32_e32 v16, 0x3d64c772, v4
	v_mul_f32_e32 v17, 0x3d64c772, v5
	v_mul_f32_e32 v24, 0xbf08b237, v28
	v_mul_f32_e32 v27, 0xbf08b237, v29
	v_mul_f32_e32 v28, 0x3f5ff5aa, v6
	v_mul_f32_e32 v29, 0x3f5ff5aa, v7
	v_fmac_f32_e32 v30, 0xbf955555, v8
	v_mov_b32_e32 v8, v1
	v_fmac_f32_e32 v8, 0xbf955555, v9
	v_fma_f32 v9, v20, s5, -v16
	v_fma_f32 v16, v21, s5, -v17
	;; [unrolled: 1-line block ×3, first 2 shown]
	v_fmac_f32_e32 v12, 0x3d64c772, v4
	v_fma_f32 v4, v21, s6, -v13
	v_fma_f32 v20, v6, s4, -v24
	v_fmac_f32_e32 v24, 0x3eae86e6, v10
	v_fma_f32 v21, v7, s4, -v27
	v_fma_f32 v28, v10, s7, -v28
	;; [unrolled: 1-line block ×3, first 2 shown]
	v_fmac_f32_e32 v13, 0x3d64c772, v5
	v_fmac_f32_e32 v27, 0x3eae86e6, v11
	v_add_f32_e32 v9, v9, v30
	v_add_f32_e32 v11, v16, v8
	;; [unrolled: 1-line block ×3, first 2 shown]
	v_fmac_f32_e32 v21, 0x3ee1c552, v3
	v_fmac_f32_e32 v10, 0x3ee1c552, v3
	v_add_f32_e32 v13, v13, v8
	v_add_f32_e32 v17, v4, v8
	v_fmac_f32_e32 v24, 0x3ee1c552, v2
	v_fmac_f32_e32 v20, 0x3ee1c552, v2
	;; [unrolled: 1-line block ×3, first 2 shown]
	v_add_f32_e32 v4, v10, v16
	v_sub_f32_e32 v6, v9, v21
	v_add_f32_e32 v8, v21, v9
	v_sub_f32_e32 v10, v16, v10
	v_add_f32_e32 v16, v18, v26
	v_add_f32_e32 v21, v19, v25
	;; [unrolled: 1-line block ×3, first 2 shown]
	v_fmac_f32_e32 v27, 0x3ee1c552, v3
	v_sub_f32_e32 v3, v13, v24
	v_sub_f32_e32 v5, v17, v28
	v_add_f32_e32 v7, v20, v11
	v_sub_f32_e32 v9, v11, v20
	v_add_f32_e32 v11, v28, v17
	v_add_f32_e32 v13, v24, v13
	;; [unrolled: 1-line block ×3, first 2 shown]
	v_sub_f32_e32 v18, v18, v26
	v_add_f32_e32 v24, v67, v70
	v_add_f32_e32 v26, v22, v23
	;; [unrolled: 1-line block ×4, first 2 shown]
	v_sub_f32_e32 v12, v12, v27
	v_add_f32_e32 v27, v68, v69
	v_add_f32_e32 v29, v24, v17
	v_sub_f32_e32 v30, v21, v16
	v_sub_f32_e32 v16, v16, v26
	;; [unrolled: 1-line block ×3, first 2 shown]
	v_add_f32_e32 v26, v26, v28
	v_sub_f32_e32 v20, v66, v71
	v_sub_f32_e32 v19, v19, v25
	;; [unrolled: 1-line block ×8, first 2 shown]
	v_add_f32_e32 v27, v27, v29
	v_add_f32_e32 v14, v26, v14
	;; [unrolled: 1-line block ×4, first 2 shown]
	v_sub_f32_e32 v45, v22, v19
	v_sub_f32_e32 v46, v23, v25
	;; [unrolled: 1-line block ×4, first 2 shown]
	v_add_f32_e32 v15, v27, v15
	v_mov_b32_e32 v47, v14
	v_sub_f32_e32 v22, v18, v22
	v_sub_f32_e32 v23, v20, v23
	v_add_f32_e32 v18, v42, v18
	v_add_f32_e32 v20, v43, v20
	v_mul_f32_e32 v16, 0x3f4a47b2, v16
	v_mul_f32_e32 v17, 0x3f4a47b2, v17
	;; [unrolled: 1-line block ×8, first 2 shown]
	v_fmac_f32_e32 v47, 0xbf955555, v26
	v_mov_b32_e32 v26, v15
	v_fmac_f32_e32 v26, 0xbf955555, v27
	v_fma_f32 v27, v30, s5, -v28
	v_fma_f32 v28, v31, s5, -v29
	;; [unrolled: 1-line block ×3, first 2 shown]
	v_fmac_f32_e32 v16, 0x3d64c772, v21
	v_fma_f32 v21, v31, s6, -v17
	v_fmac_f32_e32 v17, 0x3d64c772, v24
	v_fma_f32 v24, v19, s4, -v42
	;; [unrolled: 2-line block ×4, first 2 shown]
	v_fma_f32 v31, v23, s7, -v46
	v_add_f32_e32 v45, v16, v47
	v_add_f32_e32 v46, v17, v26
	v_add_f32_e32 v22, v27, v47
	v_add_f32_e32 v23, v28, v26
	v_add_f32_e32 v27, v29, v47
	v_add_f32_e32 v26, v21, v26
	v_fmac_f32_e32 v42, 0x3ee1c552, v18
	v_fmac_f32_e32 v43, 0x3ee1c552, v20
	;; [unrolled: 1-line block ×6, first 2 shown]
	v_add_f32_e32 v16, v43, v45
	v_sub_f32_e32 v17, v46, v42
	v_add_f32_e32 v18, v31, v27
	v_sub_f32_e32 v19, v26, v30
	v_sub_f32_e32 v20, v22, v25
	v_add_f32_e32 v21, v24, v23
	v_add_f32_e32 v22, v25, v22
	v_sub_f32_e32 v23, v23, v24
	v_sub_f32_e32 v24, v27, v31
	v_add_f32_e32 v25, v30, v26
	v_sub_f32_e32 v26, v45, v43
	v_add_f32_e32 v27, v42, v46
	ds_write2_b64 v44, v[0:1], v[2:3] offset1:51
	ds_write2_b64 v44, v[4:5], v[6:7] offset0:102 offset1:153
	ds_write2_b64 v44, v[8:9], v[10:11] offset0:204 offset1:255
	;; [unrolled: 1-line block ×6, first 2 shown]
	v_mov_b32_e32 v2, s13
	v_add_co_u32_e32 v0, vcc, s12, v38
	v_addc_co_u32_e32 v1, vcc, v2, v39, vcc
	s_waitcnt lgkmcnt(0)
	; wave barrier
	s_waitcnt lgkmcnt(0)
	global_load_dwordx2 v[24:25], v[0:1], off offset:2832
	v_add_co_u32_e32 v0, vcc, s12, v40
	v_addc_co_u32_e32 v1, vcc, v2, v41, vcc
	global_load_dwordx2 v[26:27], v[0:1], off offset:3240
	global_load_dwordx2 v[28:29], v[0:1], off offset:3648
	s_movk_i32 s4, 0x1000
	global_load_dwordx2 v[30:31], v[0:1], off offset:4056
	v_add_co_u32_e32 v0, vcc, s4, v0
	v_addc_co_u32_e32 v1, vcc, 0, v1, vcc
	global_load_dwordx2 v[38:39], v[0:1], off offset:368
	global_load_dwordx2 v[40:41], v[0:1], off offset:776
	;; [unrolled: 1-line block ×3, first 2 shown]
	ds_read2_b64 v[0:3], v44 offset1:51
	ds_read2_b64 v[4:7], v35 offset0:50 offset1:101
	ds_read2_b64 v[8:11], v35 offset0:152 offset1:203
	;; [unrolled: 1-line block ×3, first 2 shown]
	ds_read_b64 v[45:46], v44 offset:4080
	ds_read2_b64 v[16:19], v44 offset0:204 offset1:255
	ds_read2_b32 v[47:48], v54 offset0:98 offset1:99
	ds_read2_b64 v[20:23], v54 offset0:100 offset1:151
	s_waitcnt lgkmcnt(0)
	; wave barrier
	s_waitcnt vmcnt(6) lgkmcnt(0)
	v_mul_f32_e32 v49, v25, v7
	v_fma_f32 v49, v24, v6, -v49
	v_mul_f32_e32 v25, v25, v6
	v_fmac_f32_e32 v25, v24, v7
	s_waitcnt vmcnt(5)
	v_mul_f32_e32 v6, v27, v9
	v_fma_f32 v24, v26, v8, -v6
	v_mul_f32_e32 v27, v27, v8
	s_waitcnt vmcnt(4)
	v_mul_f32_e32 v6, v29, v11
	v_fmac_f32_e32 v27, v26, v9
	v_fma_f32 v26, v28, v10, -v6
	v_mul_f32_e32 v29, v29, v10
	s_waitcnt vmcnt(3)
	v_mul_f32_e32 v6, v31, v46
	v_fmac_f32_e32 v29, v28, v11
	v_fma_f32 v28, v30, v45, -v6
	v_mul_f32_e32 v31, v31, v45
	s_waitcnt vmcnt(2)
	v_mul_f32_e32 v6, v48, v39
	v_fmac_f32_e32 v31, v30, v46
	v_fma_f32 v30, v38, v47, -v6
	v_mul_f32_e32 v39, v39, v47
	s_waitcnt vmcnt(1)
	v_mul_f32_e32 v6, v21, v41
	v_fmac_f32_e32 v39, v48, v38
	v_fma_f32 v38, v20, v40, -v6
	v_mul_f32_e32 v41, v20, v41
	s_waitcnt vmcnt(0)
	v_mul_f32_e32 v6, v23, v43
	v_mul_f32_e32 v43, v22, v43
	v_fmac_f32_e32 v41, v21, v40
	v_fma_f32 v40, v22, v42, -v6
	v_fmac_f32_e32 v43, v23, v42
	v_sub_f32_e32 v6, v0, v49
	v_sub_f32_e32 v7, v1, v25
	;; [unrolled: 1-line block ×4, first 2 shown]
	v_fma_f32 v0, v0, 2.0, -v6
	v_fma_f32 v1, v1, 2.0, -v7
	;; [unrolled: 1-line block ×4, first 2 shown]
	v_sub_f32_e32 v10, v12, v26
	v_sub_f32_e32 v11, v13, v29
	;; [unrolled: 1-line block ×10, first 2 shown]
	v_fma_f32 v12, v12, 2.0, -v10
	v_fma_f32 v13, v13, 2.0, -v11
	;; [unrolled: 1-line block ×10, first 2 shown]
	ds_write2_b64 v44, v[0:1], v[2:3] offset1:51
	ds_write2_b64 v35, v[8:9], v[10:11] offset0:152 offset1:203
	ds_write2_b64 v44, v[12:13], v[14:15] offset0:102 offset1:153
	;; [unrolled: 1-line block ×6, first 2 shown]
	s_waitcnt lgkmcnt(0)
	; wave barrier
	s_waitcnt lgkmcnt(0)
	s_and_saveexec_b64 s[4:5], s[0:1]
	s_cbranch_execz .LBB0_27
; %bb.26:
	v_mul_lo_u32 v0, s3, v36
	v_mul_lo_u32 v1, s2, v37
	v_mad_u64_u32 v[4:5], s[0:1], s2, v36, 0
	v_mov_b32_e32 v7, s11
	v_lshl_add_u32 v6, v34, 3, 0
	v_add3_u32 v5, v5, v1, v0
	v_lshlrev_b64 v[4:5], 3, v[4:5]
	v_mov_b32_e32 v35, 0
	v_add_co_u32_e32 v8, vcc, s10, v4
	v_addc_co_u32_e32 v7, vcc, v7, v5, vcc
	v_lshlrev_b64 v[4:5], 3, v[32:33]
	ds_read2_b64 v[0:3], v6 offset1:51
	v_add_co_u32_e32 v8, vcc, v8, v4
	v_addc_co_u32_e32 v7, vcc, v7, v5, vcc
	v_lshlrev_b64 v[4:5], 3, v[34:35]
	v_add_u32_e32 v9, 0x800, v6
	v_add_co_u32_e32 v4, vcc, v8, v4
	v_addc_co_u32_e32 v5, vcc, v7, v5, vcc
	s_waitcnt lgkmcnt(0)
	global_store_dwordx2 v[4:5], v[0:1], off
	v_add_u32_e32 v0, 51, v34
	v_mov_b32_e32 v1, v35
	v_lshlrev_b64 v[0:1], 3, v[0:1]
	v_add_u32_e32 v4, 0x66, v34
	v_add_co_u32_e32 v0, vcc, v8, v0
	v_addc_co_u32_e32 v1, vcc, v7, v1, vcc
	global_store_dwordx2 v[0:1], v[2:3], off
	v_mov_b32_e32 v5, v35
	ds_read2_b64 v[0:3], v6 offset0:102 offset1:153
	v_lshlrev_b64 v[4:5], 3, v[4:5]
	v_add_co_u32_e32 v4, vcc, v8, v4
	v_addc_co_u32_e32 v5, vcc, v7, v5, vcc
	s_waitcnt lgkmcnt(0)
	global_store_dwordx2 v[4:5], v[0:1], off
	v_add_u32_e32 v0, 0x99, v34
	v_mov_b32_e32 v1, v35
	v_lshlrev_b64 v[0:1], 3, v[0:1]
	v_add_u32_e32 v4, 0xcc, v34
	v_add_co_u32_e32 v0, vcc, v8, v0
	v_addc_co_u32_e32 v1, vcc, v7, v1, vcc
	global_store_dwordx2 v[0:1], v[2:3], off
	v_mov_b32_e32 v5, v35
	ds_read2_b64 v[0:3], v6 offset0:204 offset1:255
	v_lshlrev_b64 v[4:5], 3, v[4:5]
	;; [unrolled: 14-line block ×4, first 2 shown]
	v_add_co_u32_e32 v4, vcc, v8, v4
	v_addc_co_u32_e32 v5, vcc, v7, v5, vcc
	s_waitcnt lgkmcnt(0)
	global_store_dwordx2 v[4:5], v[0:1], off
	v_add_u32_e32 v0, 0x1cb, v34
	v_mov_b32_e32 v1, v35
	v_lshlrev_b64 v[0:1], 3, v[0:1]
	v_add_u32_e32 v4, 0x1fe, v34
	v_add_co_u32_e32 v0, vcc, v8, v0
	v_addc_co_u32_e32 v1, vcc, v7, v1, vcc
	global_store_dwordx2 v[0:1], v[2:3], off
	v_add_u32_e32 v0, 0xc00, v6
	v_mov_b32_e32 v5, v35
	ds_read2_b64 v[0:3], v0 offset0:126 offset1:177
	v_lshlrev_b64 v[4:5], 3, v[4:5]
	v_add_co_u32_e32 v4, vcc, v8, v4
	v_addc_co_u32_e32 v5, vcc, v7, v5, vcc
	s_waitcnt lgkmcnt(0)
	global_store_dwordx2 v[4:5], v[0:1], off
	v_add_u32_e32 v0, 0x231, v34
	v_mov_b32_e32 v1, v35
	v_lshlrev_b64 v[0:1], 3, v[0:1]
	v_add_u32_e32 v4, 0x264, v34
	v_add_co_u32_e32 v0, vcc, v8, v0
	v_addc_co_u32_e32 v1, vcc, v7, v1, vcc
	global_store_dwordx2 v[0:1], v[2:3], off
	v_add_u32_e32 v0, 0x1000, v6
	v_mov_b32_e32 v5, v35
	ds_read2_b64 v[0:3], v0 offset0:100 offset1:151
	v_lshlrev_b64 v[4:5], 3, v[4:5]
	v_add_u32_e32 v34, 0x297, v34
	v_add_co_u32_e32 v4, vcc, v8, v4
	v_addc_co_u32_e32 v5, vcc, v7, v5, vcc
	s_waitcnt lgkmcnt(0)
	global_store_dwordx2 v[4:5], v[0:1], off
	v_lshlrev_b64 v[0:1], 3, v[34:35]
	v_add_co_u32_e32 v0, vcc, v8, v0
	v_addc_co_u32_e32 v1, vcc, v7, v1, vcc
	global_store_dwordx2 v[0:1], v[2:3], off
.LBB0_27:
	s_endpgm
	.section	.rodata,"a",@progbits
	.p2align	6, 0x0
	.amdhsa_kernel fft_rtc_fwd_len714_factors_3_17_7_2_wgs_51_tpt_51_halfLds_sp_op_CI_CI_unitstride_sbrr_C2R_dirReg
		.amdhsa_group_segment_fixed_size 0
		.amdhsa_private_segment_fixed_size 0
		.amdhsa_kernarg_size 104
		.amdhsa_user_sgpr_count 6
		.amdhsa_user_sgpr_private_segment_buffer 1
		.amdhsa_user_sgpr_dispatch_ptr 0
		.amdhsa_user_sgpr_queue_ptr 0
		.amdhsa_user_sgpr_kernarg_segment_ptr 1
		.amdhsa_user_sgpr_dispatch_id 0
		.amdhsa_user_sgpr_flat_scratch_init 0
		.amdhsa_user_sgpr_private_segment_size 0
		.amdhsa_uses_dynamic_stack 0
		.amdhsa_system_sgpr_private_segment_wavefront_offset 0
		.amdhsa_system_sgpr_workgroup_id_x 1
		.amdhsa_system_sgpr_workgroup_id_y 0
		.amdhsa_system_sgpr_workgroup_id_z 0
		.amdhsa_system_sgpr_workgroup_info 0
		.amdhsa_system_vgpr_workitem_id 0
		.amdhsa_next_free_vgpr 179
		.amdhsa_next_free_sgpr 28
		.amdhsa_reserve_vcc 1
		.amdhsa_reserve_flat_scratch 0
		.amdhsa_float_round_mode_32 0
		.amdhsa_float_round_mode_16_64 0
		.amdhsa_float_denorm_mode_32 3
		.amdhsa_float_denorm_mode_16_64 3
		.amdhsa_dx10_clamp 1
		.amdhsa_ieee_mode 1
		.amdhsa_fp16_overflow 0
		.amdhsa_exception_fp_ieee_invalid_op 0
		.amdhsa_exception_fp_denorm_src 0
		.amdhsa_exception_fp_ieee_div_zero 0
		.amdhsa_exception_fp_ieee_overflow 0
		.amdhsa_exception_fp_ieee_underflow 0
		.amdhsa_exception_fp_ieee_inexact 0
		.amdhsa_exception_int_div_zero 0
	.end_amdhsa_kernel
	.text
.Lfunc_end0:
	.size	fft_rtc_fwd_len714_factors_3_17_7_2_wgs_51_tpt_51_halfLds_sp_op_CI_CI_unitstride_sbrr_C2R_dirReg, .Lfunc_end0-fft_rtc_fwd_len714_factors_3_17_7_2_wgs_51_tpt_51_halfLds_sp_op_CI_CI_unitstride_sbrr_C2R_dirReg
                                        ; -- End function
	.section	.AMDGPU.csdata,"",@progbits
; Kernel info:
; codeLenInByte = 11292
; NumSgprs: 32
; NumVgprs: 179
; ScratchSize: 0
; MemoryBound: 0
; FloatMode: 240
; IeeeMode: 1
; LDSByteSize: 0 bytes/workgroup (compile time only)
; SGPRBlocks: 3
; VGPRBlocks: 44
; NumSGPRsForWavesPerEU: 32
; NumVGPRsForWavesPerEU: 179
; Occupancy: 1
; WaveLimiterHint : 1
; COMPUTE_PGM_RSRC2:SCRATCH_EN: 0
; COMPUTE_PGM_RSRC2:USER_SGPR: 6
; COMPUTE_PGM_RSRC2:TRAP_HANDLER: 0
; COMPUTE_PGM_RSRC2:TGID_X_EN: 1
; COMPUTE_PGM_RSRC2:TGID_Y_EN: 0
; COMPUTE_PGM_RSRC2:TGID_Z_EN: 0
; COMPUTE_PGM_RSRC2:TIDIG_COMP_CNT: 0
	.type	__hip_cuid_bc717f4a6722c4b5,@object ; @__hip_cuid_bc717f4a6722c4b5
	.section	.bss,"aw",@nobits
	.globl	__hip_cuid_bc717f4a6722c4b5
__hip_cuid_bc717f4a6722c4b5:
	.byte	0                               ; 0x0
	.size	__hip_cuid_bc717f4a6722c4b5, 1

	.ident	"AMD clang version 19.0.0git (https://github.com/RadeonOpenCompute/llvm-project roc-6.4.0 25133 c7fe45cf4b819c5991fe208aaa96edf142730f1d)"
	.section	".note.GNU-stack","",@progbits
	.addrsig
	.addrsig_sym __hip_cuid_bc717f4a6722c4b5
	.amdgpu_metadata
---
amdhsa.kernels:
  - .args:
      - .actual_access:  read_only
        .address_space:  global
        .offset:         0
        .size:           8
        .value_kind:     global_buffer
      - .offset:         8
        .size:           8
        .value_kind:     by_value
      - .actual_access:  read_only
        .address_space:  global
        .offset:         16
        .size:           8
        .value_kind:     global_buffer
      - .actual_access:  read_only
        .address_space:  global
        .offset:         24
        .size:           8
        .value_kind:     global_buffer
      - .actual_access:  read_only
        .address_space:  global
        .offset:         32
        .size:           8
        .value_kind:     global_buffer
      - .offset:         40
        .size:           8
        .value_kind:     by_value
      - .actual_access:  read_only
        .address_space:  global
        .offset:         48
        .size:           8
        .value_kind:     global_buffer
      - .actual_access:  read_only
        .address_space:  global
        .offset:         56
        .size:           8
        .value_kind:     global_buffer
      - .offset:         64
        .size:           4
        .value_kind:     by_value
      - .actual_access:  read_only
        .address_space:  global
        .offset:         72
        .size:           8
        .value_kind:     global_buffer
      - .actual_access:  read_only
        .address_space:  global
        .offset:         80
        .size:           8
        .value_kind:     global_buffer
      - .actual_access:  read_only
        .address_space:  global
        .offset:         88
        .size:           8
        .value_kind:     global_buffer
      - .actual_access:  write_only
        .address_space:  global
        .offset:         96
        .size:           8
        .value_kind:     global_buffer
    .group_segment_fixed_size: 0
    .kernarg_segment_align: 8
    .kernarg_segment_size: 104
    .language:       OpenCL C
    .language_version:
      - 2
      - 0
    .max_flat_workgroup_size: 51
    .name:           fft_rtc_fwd_len714_factors_3_17_7_2_wgs_51_tpt_51_halfLds_sp_op_CI_CI_unitstride_sbrr_C2R_dirReg
    .private_segment_fixed_size: 0
    .sgpr_count:     32
    .sgpr_spill_count: 0
    .symbol:         fft_rtc_fwd_len714_factors_3_17_7_2_wgs_51_tpt_51_halfLds_sp_op_CI_CI_unitstride_sbrr_C2R_dirReg.kd
    .uniform_work_group_size: 1
    .uses_dynamic_stack: false
    .vgpr_count:     179
    .vgpr_spill_count: 0
    .wavefront_size: 64
amdhsa.target:   amdgcn-amd-amdhsa--gfx906
amdhsa.version:
  - 1
  - 2
...

	.end_amdgpu_metadata
